;; amdgpu-corpus repo=ROCm/rocFFT kind=compiled arch=gfx1100 opt=O3
	.text
	.amdgcn_target "amdgcn-amd-amdhsa--gfx1100"
	.amdhsa_code_object_version 6
	.protected	bluestein_single_back_len1156_dim1_sp_op_CI_CI ; -- Begin function bluestein_single_back_len1156_dim1_sp_op_CI_CI
	.globl	bluestein_single_back_len1156_dim1_sp_op_CI_CI
	.p2align	8
	.type	bluestein_single_back_len1156_dim1_sp_op_CI_CI,@function
bluestein_single_back_len1156_dim1_sp_op_CI_CI: ; @bluestein_single_back_len1156_dim1_sp_op_CI_CI
; %bb.0:
	s_load_b128 s[16:19], s[0:1], 0x28
	v_mul_u32_u24_e32 v1, 0x3c4, v0
	s_mov_b32 s2, exec_lo
	s_delay_alu instid0(VALU_DEP_1) | instskip(NEXT) | instid1(VALU_DEP_1)
	v_lshrrev_b32_e32 v1, 16, v1
	v_mad_u64_u32 v[64:65], null, s15, 3, v[1:2]
	v_mov_b32_e32 v65, 0
                                        ; kill: def $vgpr2 killed $sgpr0 killed $exec
	s_waitcnt lgkmcnt(0)
	s_delay_alu instid0(VALU_DEP_1)
	v_cmpx_gt_u64_e64 s[16:17], v[64:65]
	s_cbranch_execz .LBB0_18
; %bb.1:
	s_clause 0x1
	s_load_b128 s[4:7], s[0:1], 0x18
	s_load_b128 s[8:11], s[0:1], 0x0
	v_mul_lo_u16 v1, 0x44, v1
	s_delay_alu instid0(VALU_DEP_1) | instskip(NEXT) | instid1(VALU_DEP_1)
	v_sub_nc_u16 v34, v0, v1
	v_and_b32_e32 v141, 0xffff, v34
	s_delay_alu instid0(VALU_DEP_1)
	v_lshlrev_b32_e32 v121, 3, v141
	s_waitcnt lgkmcnt(0)
	s_load_b128 s[12:15], s[4:5], 0x0
	s_clause 0x3
	global_load_b64 v[85:86], v121, s[8:9]
	global_load_b64 v[89:90], v121, s[8:9] offset:544
	global_load_b64 v[48:49], v121, s[8:9] offset:1088
	;; [unrolled: 1-line block ×3, first 2 shown]
	v_add_co_u32 v155, s2, s8, v121
	s_delay_alu instid0(VALU_DEP_1)
	v_add_co_ci_u32_e64 v156, null, s9, 0, s2
	s_clause 0x3
	global_load_b64 v[52:53], v121, s[8:9] offset:2176
	global_load_b64 v[56:57], v121, s[8:9] offset:2720
	;; [unrolled: 1-line block ×4, first 2 shown]
	s_waitcnt lgkmcnt(0)
	v_mad_u64_u32 v[0:1], null, s14, v64, 0
	v_mad_u64_u32 v[2:3], null, s12, v141, 0
	s_mul_i32 s2, s13, 0x220
	s_mul_hi_u32 s3, s12, 0x220
	s_mul_i32 s4, s12, 0x220
	s_add_i32 s3, s3, s2
	s_delay_alu instid0(VALU_DEP_1) | instskip(NEXT) | instid1(VALU_DEP_1)
	v_mad_u64_u32 v[4:5], null, s15, v64, v[1:2]
	v_mad_u64_u32 v[5:6], null, s13, v141, v[3:4]
	v_mov_b32_e32 v1, v4
	v_add_co_u32 v4, vcc_lo, 0x1000, v155
	s_delay_alu instid0(VALU_DEP_2) | instskip(NEXT) | instid1(VALU_DEP_4)
	v_lshlrev_b64 v[0:1], 3, v[0:1]
	v_mov_b32_e32 v3, v5
	v_add_co_ci_u32_e32 v5, vcc_lo, 0, v156, vcc_lo
	s_clause 0x3
	global_load_b64 v[97:98], v[4:5], off offset:256
	global_load_b64 v[95:96], v[4:5], off offset:800
	;; [unrolled: 1-line block ×4, first 2 shown]
	v_lshlrev_b64 v[2:3], 3, v[2:3]
	v_add_co_u32 v0, vcc_lo, s18, v0
	v_add_co_ci_u32_e32 v1, vcc_lo, s19, v1, vcc_lo
	s_clause 0x2
	global_load_b64 v[60:61], v[4:5], off offset:2432
	global_load_b64 v[58:59], v[4:5], off offset:2976
	global_load_b64 v[54:55], v[4:5], off offset:3520
	v_add_co_u32 v0, vcc_lo, v0, v2
	v_add_co_ci_u32_e32 v1, vcc_lo, v1, v3, vcc_lo
	s_delay_alu instid0(VALU_DEP_2) | instskip(NEXT) | instid1(VALU_DEP_2)
	v_add_co_u32 v2, vcc_lo, v0, s4
	v_add_co_ci_u32_e32 v3, vcc_lo, s3, v1, vcc_lo
	v_add_co_u32 v117, vcc_lo, 0x2000, v155
	v_add_co_ci_u32_e32 v118, vcc_lo, 0, v156, vcc_lo
	s_delay_alu instid0(VALU_DEP_4) | instskip(NEXT) | instid1(VALU_DEP_4)
	v_add_co_u32 v6, vcc_lo, v2, s4
	v_add_co_ci_u32_e32 v7, vcc_lo, s3, v3, vcc_lo
	s_delay_alu instid0(VALU_DEP_2) | instskip(NEXT) | instid1(VALU_DEP_2)
	v_add_co_u32 v8, vcc_lo, v6, s4
	v_add_co_ci_u32_e32 v9, vcc_lo, s3, v7, vcc_lo
	s_delay_alu instid0(VALU_DEP_2) | instskip(NEXT) | instid1(VALU_DEP_2)
	v_add_co_u32 v10, vcc_lo, v8, s4
	v_add_co_ci_u32_e32 v11, vcc_lo, s3, v9, vcc_lo
	s_clause 0x3
	global_load_b64 v[0:1], v[0:1], off
	global_load_b64 v[2:3], v[2:3], off
	;; [unrolled: 1-line block ×4, first 2 shown]
	v_add_co_u32 v12, vcc_lo, v10, s4
	v_add_co_ci_u32_e32 v13, vcc_lo, s3, v11, vcc_lo
	global_load_b64 v[10:11], v[10:11], off
	v_add_co_u32 v14, vcc_lo, v12, s4
	v_add_co_ci_u32_e32 v15, vcc_lo, s3, v13, vcc_lo
	global_load_b64 v[12:13], v[12:13], off
	;; [unrolled: 3-line block ×11, first 2 shown]
	v_add_co_u32 v30, vcc_lo, v32, s4
	v_add_co_ci_u32_e32 v31, vcc_lo, s3, v33, vcc_lo
	global_load_b64 v[83:84], v[4:5], off offset:4064
	global_load_b64 v[4:5], v[32:33], off
	global_load_b64 v[87:88], v[117:118], off offset:512
	global_load_b64 v[31:32], v[30:31], off
	v_mul_hi_u32 v30, 0xaaaaaaab, v64
	s_load_b128 s[4:7], s[6:7], 0x0
	s_load_b64 s[2:3], s[0:1], 0x38
	v_cmp_gt_u16_e32 vcc_lo, 34, v34
	s_delay_alu instid0(VALU_DEP_2) | instskip(NEXT) | instid1(VALU_DEP_1)
	v_lshrrev_b32_e32 v30, 1, v30
	v_lshl_add_u32 v30, v30, 1, v30
	s_delay_alu instid0(VALU_DEP_1) | instskip(NEXT) | instid1(VALU_DEP_1)
	v_sub_nc_u32_e32 v30, v64, v30
	v_mul_u32_u24_e32 v30, 0x484, v30
	s_waitcnt vmcnt(30)
	scratch_store_b64 off, v[50:51], off offset:24 ; 8-byte Folded Spill
	s_waitcnt vmcnt(29)
	scratch_store_b64 off, v[52:53], off offset:32 ; 8-byte Folded Spill
	;; [unrolled: 2-line block ×3, first 2 shown]
	s_waitcnt vmcnt(27)
	scratch_store_b64 off, v[44:45], off    ; 8-byte Folded Spill
	s_waitcnt vmcnt(26)
	s_clause 0x1
	scratch_store_b64 off, v[46:47], off offset:8
	scratch_store_b64 off, v[48:49], off offset:16
	s_waitcnt vmcnt(21)
	scratch_store_b64 off, v[60:61], off offset:64 ; 8-byte Folded Spill
	s_waitcnt vmcnt(20)
	scratch_store_b64 off, v[58:59], off offset:56 ; 8-byte Folded Spill
	;; [unrolled: 2-line block ×3, first 2 shown]
	s_waitcnt vmcnt(18)
	v_mul_f32_e32 v39, v1, v86
	v_mul_f32_e32 v33, v0, v86
	s_waitcnt vmcnt(17)
	v_mul_f32_e32 v41, v3, v90
	s_waitcnt vmcnt(15)
	v_mul_f32_e32 v43, v8, v51
	v_fmac_f32_e32 v39, v0, v85
	v_dual_mul_f32 v0, v7, v49 :: v_dual_lshlrev_b32 v143, 3, v30
	v_fma_f32 v40, v1, v85, -v33
	v_mul_f32_e32 v1, v2, v90
	v_dual_fmac_f32 v41, v2, v89 :: v_dual_mul_f32 v2, v9, v51
	s_delay_alu instid0(VALU_DEP_4) | instskip(SKIP_1) | instid1(VALU_DEP_4)
	v_fmac_f32_e32 v0, v6, v48
	v_dual_mul_f32 v33, v6, v49 :: v_dual_add_nc_u32 v142, v121, v143
	v_fma_f32 v42, v3, v89, -v1
	s_delay_alu instid0(VALU_DEP_4) | instskip(SKIP_1) | instid1(VALU_DEP_4)
	v_fmac_f32_e32 v2, v8, v50
	v_fma_f32 v3, v9, v50, -v43
	v_add_nc_u32_e32 v36, 0x1800, v142
	v_fma_f32 v1, v7, v48, -v33
	s_waitcnt vmcnt(14)
	v_dual_mul_f32 v6, v11, v53 :: v_dual_add_nc_u32 v35, 0x800, v142
	v_mul_f32_e32 v7, v10, v53
	ds_store_2addr_b64 v142, v[39:40], v[41:42] offset1:68
	s_waitcnt vmcnt(13)
	v_mul_f32_e32 v8, v13, v57
	ds_store_2addr_b64 v142, v[0:1], v[2:3] offset0:136 offset1:204
	v_dual_mul_f32 v1, v12, v57 :: v_dual_fmac_f32 v6, v10, v52
	s_waitcnt vmcnt(12)
	v_mul_f32_e32 v0, v15, v45
	v_fmac_f32_e32 v8, v12, v56
	s_waitcnt vmcnt(11)
	v_dual_mul_f32 v2, v17, v47 :: v_dual_mul_f32 v3, v14, v45
	v_mul_f32_e32 v10, v16, v47
	v_fma_f32 v7, v11, v52, -v7
	v_fma_f32 v9, v13, v56, -v1
	s_delay_alu instid0(VALU_DEP_4)
	v_fmac_f32_e32 v2, v16, v46
	v_fmac_f32_e32 v0, v14, v44
	v_fma_f32 v1, v15, v44, -v3
	v_fma_f32 v3, v17, v46, -v10
	s_waitcnt vmcnt(10)
	v_mul_f32_e32 v10, v19, v98
	v_mul_f32_e32 v11, v18, v98
	ds_store_2addr_b64 v35, v[6:7], v[8:9] offset0:16 offset1:84
	s_waitcnt vmcnt(9)
	v_mul_f32_e32 v6, v21, v96
	ds_store_2addr_b64 v35, v[0:1], v[2:3] offset0:152 offset1:220
	v_dual_fmac_f32 v10, v18, v97 :: v_dual_mul_f32 v1, v20, v96
	s_waitcnt vmcnt(7)
	v_dual_mul_f32 v0, v23, v94 :: v_dual_mul_f32 v9, v24, v92
	v_dual_fmac_f32 v6, v20, v95 :: v_dual_mul_f32 v3, v22, v94
	v_mul_f32_e32 v2, v25, v92
	v_fma_f32 v7, v21, v95, -v1
	s_waitcnt vmcnt(5)
	v_dual_fmac_f32 v0, v22, v93 :: v_dual_mul_f32 v13, v28, v59
	v_fma_f32 v1, v23, v93, -v3
	v_mul_f32_e32 v8, v27, v61
	v_fma_f32 v3, v25, v91, -v9
	v_mul_f32_e32 v9, v26, v61
	s_waitcnt vmcnt(4)
	v_mul_f32_e32 v15, v37, v55
	v_mul_f32_e32 v12, v29, v59
	;; [unrolled: 1-line block ×3, first 2 shown]
	s_waitcnt vmcnt(2)
	v_mul_f32_e32 v16, v5, v84
	v_mul_f32_e32 v17, v4, v84
	v_fma_f32 v11, v19, v97, -v11
	s_waitcnt vmcnt(0)
	v_dual_fmac_f32 v2, v24, v91 :: v_dual_mul_f32 v19, v31, v88
	v_mul_f32_e32 v18, v32, v88
	v_add_nc_u32_e32 v30, 0x1000, v142
	v_fmac_f32_e32 v8, v26, v60
	v_fma_f32 v9, v27, v60, -v9
	v_fmac_f32_e32 v12, v28, v58
	v_fma_f32 v13, v29, v58, -v13
	;; [unrolled: 2-line block ×5, first 2 shown]
	ds_store_2addr_b64 v30, v[10:11], v[6:7] offset0:32 offset1:100
	ds_store_2addr_b64 v30, v[0:1], v[2:3] offset0:168 offset1:236
	ds_store_2addr_b64 v36, v[8:9], v[12:13] offset0:48 offset1:116
	ds_store_2addr_b64 v36, v[14:15], v[16:17] offset0:184 offset1:252
	ds_store_b64 v142, v[18:19] offset:8704
	s_waitcnt lgkmcnt(0)
	s_waitcnt_vscnt null, 0x0
	s_barrier
	buffer_gl0_inv
	ds_load_2addr_b64 v[24:27], v142 offset1:68
	ds_load_b64 v[28:29], v142 offset:8704
	ds_load_2addr_b64 v[37:40], v142 offset0:136 offset1:204
	ds_load_2addr_b64 v[20:23], v36 offset0:184 offset1:252
	ds_load_2addr_b64 v[12:15], v35 offset0:16 offset1:84
	ds_load_2addr_b64 v[16:19], v36 offset0:48 offset1:116
	ds_load_2addr_b64 v[4:7], v35 offset0:152 offset1:220
	ds_load_2addr_b64 v[0:3], v30 offset0:32 offset1:100
	ds_load_2addr_b64 v[8:11], v30 offset0:168 offset1:236
	s_waitcnt lgkmcnt(0)
	s_barrier
	buffer_gl0_inv
	v_dual_add_f32 v31, v24, v26 :: v_dual_add_f32 v32, v25, v27
	v_add_f32_e32 v33, v28, v26
	v_dual_add_f32 v41, v29, v27 :: v_dual_sub_f32 v26, v26, v28
	v_sub_f32_e32 v53, v13, v19
	v_dual_sub_f32 v27, v27, v29 :: v_dual_sub_f32 v44, v37, v22
	v_add_f32_e32 v31, v31, v37
	v_add_f32_e32 v43, v23, v38
	v_sub_f32_e32 v45, v38, v23
	v_dual_add_f32 v46, v20, v39 :: v_dual_mul_f32 v55, 0xbf2c7751, v26
	v_dual_sub_f32 v48, v39, v20 :: v_dual_mul_f32 v57, 0xbf65296c, v26
	v_sub_f32_e32 v49, v40, v21
	v_dual_add_f32 v51, v19, v13 :: v_dual_add_f32 v32, v32, v38
	s_delay_alu instid0(VALU_DEP_3)
	v_dual_mul_f32 v38, 0xbeb8f4ab, v26 :: v_dual_mul_f32 v129, 0xbeb8f4ab, v48
	v_dual_mul_f32 v54, 0xbf2c7751, v27 :: v_dual_mul_f32 v101, 0xbf2c7751, v45
	v_mul_f32_e32 v100, 0xbf06c442, v26
	v_dual_mul_f32 v102, 0xbf2c7751, v44 :: v_dual_add_f32 v31, v31, v39
	v_dual_add_f32 v42, v22, v37 :: v_dual_mul_f32 v37, 0xbeb8f4ab, v27
	v_add_f32_e32 v47, v21, v40
	v_dual_add_f32 v50, v18, v12 :: v_dual_mul_f32 v59, 0xbf7ee86f, v26
	v_dual_sub_f32 v52, v12, v18 :: v_dual_mul_f32 v99, 0xbf06c442, v27
	v_dual_mul_f32 v56, 0xbf65296c, v27 :: v_dual_mul_f32 v115, 0xbf65296c, v49
	v_dual_mul_f32 v58, 0xbf7ee86f, v27 :: v_dual_mul_f32 v103, 0xbf7ee86f, v45
	;; [unrolled: 1-line block ×5, first 2 shown]
	v_mul_f32_e32 v107, 0xbe3c28d5, v45
	v_dual_mul_f32 v119, 0xbf4c4adb, v49 :: v_dual_mul_f32 v120, 0xbf4c4adb, v48
	v_dual_mul_f32 v122, 0x3e3c28d5, v49 :: v_dual_mul_f32 v123, 0x3e3c28d5, v48
	;; [unrolled: 1-line block ×5, first 2 shown]
	v_dual_mul_f32 v147, 0x3f4c4adb, v53 :: v_dual_add_f32 v32, v32, v40
	v_fmamk_f32 v40, v41, 0x3f6eb680, v38
	v_fma_f32 v38, 0x3f6eb680, v41, -v38
	v_fma_f32 v148, 0x3f3d2fb0, v33, -v54
	v_mul_f32_e32 v128, 0xbeb8f4ab, v49
	v_mul_f32_e32 v49, 0xbf06c442, v49
	v_dual_fmamk_f32 v149, v41, 0x3f3d2fb0, v55 :: v_dual_fmac_f32 v54, 0x3f3d2fb0, v33
	v_dual_fmamk_f32 v161, v41, 0xbf59a7d5, v100 :: v_dual_add_f32 v12, v31, v12
	v_dual_mul_f32 v104, 0xbf7ee86f, v44 :: v_dual_add_f32 v13, v32, v13
	v_dual_mul_f32 v105, 0xbf4c4adb, v45 :: v_dual_mul_f32 v106, 0xbf4c4adb, v44
	v_dual_mul_f32 v109, 0x3f06c442, v45 :: v_dual_mul_f32 v110, 0x3f06c442, v44
	;; [unrolled: 1-line block ×4, first 2 shown]
	v_mul_f32_e32 v45, 0x3eb8f4ab, v45
	v_dual_mul_f32 v132, 0xbf7ee86f, v53 :: v_dual_mul_f32 v133, 0xbf7ee86f, v52
	v_fma_f32 v39, 0x3f6eb680, v33, -v37
	v_mul_f32_e32 v108, 0xbe3c28d5, v44
	v_mul_f32_e32 v44, 0x3eb8f4ab, v44
	v_fmac_f32_e32 v37, 0x3f6eb680, v33
	v_mul_f32_e32 v116, 0xbf65296c, v48
	v_dual_mul_f32 v48, 0xbf06c442, v48 :: v_dual_mul_f32 v145, 0xbf06c442, v53
	v_fma_f32 v55, 0x3f3d2fb0, v41, -v55
	v_mul_f32_e32 v140, 0xbf65296c, v53
	v_fma_f32 v150, 0x3ee437d1, v33, -v56
	v_dual_fmamk_f32 v151, v41, 0x3ee437d1, v57 :: v_dual_fmac_f32 v56, 0x3ee437d1, v33
	v_fma_f32 v57, 0x3ee437d1, v41, -v57
	v_fma_f32 v152, 0x3dbcf732, v33, -v58
	v_dual_fmamk_f32 v153, v41, 0x3dbcf732, v59 :: v_dual_fmac_f32 v58, 0x3dbcf732, v33
	v_fma_f32 v59, 0x3dbcf732, v41, -v59
	;; [unrolled: 3-line block ×4, first 2 shown]
	v_fma_f32 v160, 0xbf59a7d5, v33, -v99
	v_dual_fmac_f32 v99, 0xbf59a7d5, v33 :: v_dual_add_f32 v32, v25, v40
	v_fma_f32 v100, 0xbf59a7d5, v41, -v100
	v_fma_f32 v162, 0xbf7ba420, v33, -v27
	v_dual_fmamk_f32 v163, v41, 0xbf7ba420, v26 :: v_dual_add_f32 v54, v24, v54
	v_fmac_f32_e32 v27, 0xbf7ba420, v33
	v_fma_f32 v26, 0xbf7ba420, v41, -v26
	v_dual_fmamk_f32 v41, v43, 0x3f3d2fb0, v102 :: v_dual_add_f32 v38, v25, v38
	v_fma_f32 v102, 0x3f3d2fb0, v43, -v102
	v_fma_f32 v164, 0x3dbcf732, v42, -v103
	v_dual_fmac_f32 v103, 0x3dbcf732, v42 :: v_dual_add_f32 v56, v24, v56
	v_dual_fmamk_f32 v179, v47, 0xbf1a4643, v120 :: v_dual_add_f32 v12, v12, v14
	v_mul_f32_e32 v144, 0xbf65296c, v52
	v_fma_f32 v33, 0x3f3d2fb0, v42, -v101
	v_dual_fmac_f32 v101, 0x3f3d2fb0, v42 :: v_dual_add_f32 v40, v25, v149
	v_fmamk_f32 v165, v43, 0x3dbcf732, v104
	v_fma_f32 v104, 0x3dbcf732, v43, -v104
	v_fma_f32 v166, 0xbf1a4643, v42, -v105
	v_fmamk_f32 v167, v43, 0xbf1a4643, v106
	v_dual_fmac_f32 v105, 0xbf1a4643, v42 :: v_dual_add_f32 v60, v24, v60
	v_fma_f32 v106, 0xbf1a4643, v43, -v106
	v_fma_f32 v168, 0xbf7ba420, v42, -v107
	v_fmac_f32_e32 v107, 0xbf7ba420, v42
	v_fma_f32 v170, 0xbf59a7d5, v42, -v109
	v_fmamk_f32 v171, v43, 0xbf59a7d5, v110
	v_dual_fmac_f32 v109, 0xbf59a7d5, v42 :: v_dual_add_f32 v100, v25, v100
	v_fma_f32 v110, 0xbf59a7d5, v43, -v110
	v_fma_f32 v172, 0xbe8c1d8e, v42, -v111
	v_fmamk_f32 v173, v43, 0xbe8c1d8e, v112
	v_fma_f32 v112, 0xbe8c1d8e, v43, -v112
	v_fma_f32 v174, 0x3ee437d1, v42, -v113
	v_dual_fmamk_f32 v175, v43, 0x3ee437d1, v114 :: v_dual_add_f32 v62, v24, v62
	v_fma_f32 v114, 0x3ee437d1, v43, -v114
	v_fma_f32 v176, 0x3f6eb680, v42, -v45
	v_fmamk_f32 v177, v43, 0x3f6eb680, v44
	v_fma_f32 v178, 0xbf1a4643, v46, -v119
	v_fmac_f32_e32 v119, 0xbf1a4643, v46
	v_fma_f32 v180, 0xbf7ba420, v46, -v122
	v_fmac_f32_e32 v122, 0xbf7ba420, v46
	v_fmac_f32_e32 v111, 0xbe8c1d8e, v42
	v_fma_f32 v182, 0xbe8c1d8e, v46, -v124
	v_dual_fmamk_f32 v183, v47, 0xbe8c1d8e, v125 :: v_dual_fmac_f32 v124, 0xbe8c1d8e, v46
	v_fma_f32 v184, 0x3f3d2fb0, v46, -v126
	v_dual_fmamk_f32 v185, v47, 0x3f3d2fb0, v127 :: v_dual_fmac_f32 v126, 0x3f3d2fb0, v46
	;; [unrolled: 2-line block ×3, first 2 shown]
	v_fma_f32 v190, 0xbf59a7d5, v46, -v49
	v_fmamk_f32 v191, v47, 0xbf59a7d5, v48
	v_add_f32_e32 v31, v24, v39
	v_dual_fmamk_f32 v169, v43, 0xbf7ba420, v108 :: v_dual_add_f32 v58, v24, v58
	v_fma_f32 v108, 0xbf7ba420, v43, -v108
	v_fmac_f32_e32 v45, 0x3f6eb680, v42
	v_add_f32_e32 v37, v24, v37
	v_fmac_f32_e32 v113, 0x3ee437d1, v42
	v_fma_f32 v42, 0x3f6eb680, v43, -v44
	v_fmamk_f32 v44, v47, 0x3ee437d1, v116
	v_fma_f32 v43, 0x3ee437d1, v46, -v115
	v_add_f32_e32 v39, v24, v148
	v_fma_f32 v186, 0x3f6eb680, v46, -v128
	v_dual_fmamk_f32 v187, v47, 0x3f6eb680, v129 :: v_dual_fmac_f32 v128, 0x3f6eb680, v46
	v_add_f32_e32 v55, v25, v55
	v_fma_f32 v198, 0x3ee437d1, v50, -v140
	v_fmac_f32_e32 v140, 0x3ee437d1, v50
	v_add_f32_e32 v148, v24, v150
	v_fmac_f32_e32 v115, 0x3ee437d1, v46
	v_dual_add_f32 v149, v25, v151 :: v_dual_add_f32 v150, v24, v152
	v_add_f32_e32 v151, v25, v153
	v_dual_add_f32 v59, v25, v59 :: v_dual_add_f32 v152, v24, v154
	v_dual_add_f32 v153, v25, v157 :: v_dual_add_f32 v154, v24, v158
	;; [unrolled: 1-line block ×4, first 2 shown]
	v_add_f32_e32 v100, v114, v100
	v_dual_add_f32 v160, v24, v162 :: v_dual_add_f32 v161, v25, v163
	v_add_f32_e32 v12, v12, v4
	v_add_f32_e32 v99, v24, v99
	v_dual_add_f32 v24, v24, v27 :: v_dual_add_f32 v27, v41, v32
	v_add_f32_e32 v32, v102, v38
	v_add_f32_e32 v38, v103, v54
	v_dual_fmac_f32 v49, 0xbf59a7d5, v46 :: v_dual_add_f32 v102, v171, v153
	v_fma_f32 v46, 0xbf59a7d5, v47, -v48
	v_fmamk_f32 v48, v51, 0x3dbcf732, v133
	v_dual_fmamk_f32 v199, v51, 0x3ee437d1, v144 :: v_dual_add_f32 v60, v109, v60
	v_dual_add_f32 v59, v108, v59 :: v_dual_add_f32 v108, v177, v161
	v_dual_add_f32 v99, v113, v99 :: v_dual_add_f32 v12, v12, v6
	v_dual_mul_f32 v134, 0xbe3c28d5, v53 :: v_dual_mul_f32 v135, 0xbe3c28d5, v52
	v_dual_mul_f32 v146, 0xbf06c442, v52 :: v_dual_add_f32 v57, v25, v57
	v_fma_f32 v116, 0x3ee437d1, v47, -v116
	v_fma_f32 v120, 0xbf1a4643, v47, -v120
	v_fmamk_f32 v181, v47, 0xbf7ba420, v123
	v_fma_f32 v123, 0xbf7ba420, v47, -v123
	v_fma_f32 v125, 0xbe8c1d8e, v47, -v125
	;; [unrolled: 1-line block ×6, first 2 shown]
	v_dual_fmac_f32 v132, 0x3dbcf732, v50 :: v_dual_add_f32 v61, v25, v61
	v_dual_add_f32 v63, v25, v63 :: v_dual_add_f32 v62, v111, v62
	v_add_f32_e32 v25, v25, v26
	v_add_f32_e32 v26, v33, v31
	;; [unrolled: 1-line block ×3, first 2 shown]
	v_dual_add_f32 v54, v105, v56 :: v_dual_add_f32 v105, v174, v158
	v_dual_add_f32 v12, v12, v0 :: v_dual_add_f32 v31, v101, v37
	v_add_f32_e32 v32, v116, v32
	s_delay_alu instid0(VALU_DEP_4) | instskip(NEXT) | instid1(VALU_DEP_3)
	v_dual_add_f32 v26, v43, v26 :: v_dual_add_f32 v13, v13, v5
	v_dual_add_f32 v12, v12, v2 :: v_dual_add_f32 v37, v165, v40
	s_delay_alu instid0(VALU_DEP_4) | instskip(SKIP_1) | instid1(VALU_DEP_3)
	v_dual_add_f32 v40, v166, v148 :: v_dual_add_f32 v31, v115, v31
	v_dual_fmamk_f32 v193, v51, 0xbf7ba420, v135 :: v_dual_add_f32 v56, v168, v150
	v_add_f32_e32 v12, v12, v8
	v_dual_add_f32 v33, v164, v39 :: v_dual_add_f32 v24, v45, v24
	v_add_f32_e32 v39, v104, v55
	v_dual_add_f32 v55, v106, v57 :: v_dual_add_f32 v106, v175, v159
	s_delay_alu instid0(VALU_DEP_3) | instskip(SKIP_2) | instid1(VALU_DEP_4)
	v_dual_add_f32 v25, v42, v25 :: v_dual_add_f32 v24, v49, v24
	v_dual_add_f32 v42, v122, v54 :: v_dual_add_f32 v37, v179, v37
	v_add_f32_e32 v12, v12, v10
	v_dual_add_f32 v54, v124, v58 :: v_dual_add_f32 v43, v123, v55
	v_add_f32_e32 v58, v126, v60
	v_dual_mul_f32 v136, 0x3f763a35, v53 :: v_dual_mul_f32 v137, 0x3f763a35, v52
	s_delay_alu instid0(VALU_DEP_4) | instskip(SKIP_2) | instid1(VALU_DEP_3)
	v_dual_add_f32 v12, v12, v16 :: v_dual_add_f32 v55, v125, v59
	v_dual_mul_f32 v138, 0x3eb8f4ab, v53 :: v_dual_mul_f32 v139, 0x3eb8f4ab, v52
	v_dual_fmamk_f32 v201, v51, 0xbf59a7d5, v146 :: v_dual_add_f32 v104, v173, v157
	v_dual_add_f32 v12, v12, v18 :: v_dual_add_f32 v101, v170, v152
	v_dual_add_f32 v62, v128, v62 :: v_dual_add_f32 v57, v169, v151
	v_add_f32_e32 v61, v110, v61
	s_delay_alu instid0(VALU_DEP_3)
	v_dual_add_f32 v13, v13, v7 :: v_dual_add_f32 v12, v12, v20
	v_fma_f32 v194, 0xbe8c1d8e, v50, -v136
	v_dual_fmamk_f32 v195, v51, 0xbe8c1d8e, v137 :: v_dual_fmac_f32 v136, 0xbe8c1d8e, v50
	v_fma_f32 v196, 0x3f6eb680, v50, -v138
	v_dual_fmamk_f32 v197, v51, 0x3f6eb680, v139 :: v_dual_fmac_f32 v138, 0x3f6eb680, v50
	v_dual_add_f32 v103, v172, v154 :: v_dual_add_f32 v100, v131, v100
	v_dual_add_f32 v107, v176, v160 :: v_dual_add_f32 v38, v119, v38
	;; [unrolled: 1-line block ×3, first 2 shown]
	v_add_f32_e32 v44, v182, v56
	v_add_f32_e32 v56, v184, v101
	v_dual_add_f32 v45, v183, v57 :: v_dual_add_f32 v42, v136, v42
	s_delay_alu instid0(VALU_DEP_3)
	v_dual_add_f32 v57, v185, v102 :: v_dual_add_f32 v18, v196, v44
	v_dual_add_f32 v102, v189, v106 :: v_dual_add_f32 v59, v127, v61
	;; [unrolled: 1-line block ×3, first 2 shown]
	v_add_f32_e32 v12, v12, v22
	v_fma_f32 v139, 0x3f6eb680, v51, -v139
	v_add_f32_e32 v60, v186, v103
	v_add_f32_e32 v103, v190, v107
	s_delay_alu instid0(VALU_DEP_4) | instskip(SKIP_3) | instid1(VALU_DEP_3)
	v_dual_add_f32 v13, v13, v1 :: v_dual_add_f32 v12, v12, v28
	v_mul_f32_e32 v28, 0x3f4c4adb, v52
	v_fma_f32 v200, 0xbf59a7d5, v50, -v145
	v_dual_add_f32 v101, v188, v105 :: v_dual_add_f32 v20, v139, v55
	v_dual_add_f32 v25, v46, v25 :: v_dual_fmamk_f32 v54, v51, 0xbf1a4643, v28
	v_add_f32_e32 v27, v48, v27
	v_fma_f32 v48, 0xbf1a4643, v50, -v147
	v_add_f32_e32 v13, v13, v3
	v_dual_add_f32 v99, v130, v99 :: v_dual_add_f32 v46, v200, v60
	s_delay_alu instid0(VALU_DEP_3) | instskip(NEXT) | instid1(VALU_DEP_3)
	v_dual_fmac_f32 v147, 0xbf1a4643, v50 :: v_dual_add_f32 v48, v48, v101
	v_add_f32_e32 v13, v13, v9
	v_fma_f32 v192, 0xbf7ba420, v50, -v134
	v_fmac_f32_e32 v134, 0xbf7ba420, v50
	v_fma_f32 v135, 0xbf7ba420, v51, -v135
	v_fma_f32 v144, 0x3ee437d1, v51, -v144
	v_add_f32_e32 v13, v13, v11
	s_delay_alu instid0(VALU_DEP_4) | instskip(SKIP_1) | instid1(VALU_DEP_3)
	v_dual_add_f32 v39, v120, v39 :: v_dual_add_f32 v38, v134, v38
	v_dual_add_f32 v31, v132, v31 :: v_dual_mul_f32 v52, 0x3f2c7751, v52
	v_add_f32_e32 v13, v13, v17
	v_fma_f32 v133, 0x3dbcf732, v51, -v133
	v_fma_f32 v137, 0xbe8c1d8e, v51, -v137
	v_add_f32_e32 v39, v135, v39
	v_dual_add_f32 v41, v167, v149 :: v_dual_add_f32 v40, v180, v40
	v_add_f32_e32 v13, v13, v19
	v_dual_add_f32 v33, v178, v33 :: v_dual_add_f32 v32, v133, v32
	s_delay_alu instid0(VALU_DEP_3) | instskip(NEXT) | instid1(VALU_DEP_3)
	v_dual_add_f32 v41, v181, v41 :: v_dual_add_f32 v40, v194, v40
	v_add_f32_e32 v13, v13, v21
	v_dual_add_f32 v63, v112, v63 :: v_dual_add_f32 v104, v191, v108
	s_delay_alu instid0(VALU_DEP_4) | instskip(SKIP_1) | instid1(VALU_DEP_4)
	v_add_f32_e32 v33, v192, v33
	v_add_f32_e32 v22, v140, v58
	v_dual_fmamk_f32 v58, v51, 0x3f3d2fb0, v52 :: v_dual_add_f32 v13, v13, v23
	v_add_f32_e32 v23, v144, v59
	v_dual_add_f32 v59, v16, v14 :: v_dual_sub_f32 v14, v14, v16
	v_fma_f32 v16, 0x3f3d2fb0, v51, -v52
	v_add_f32_e32 v43, v137, v43
	v_add_f32_e32 v19, v197, v45
	;; [unrolled: 1-line block ×3, first 2 shown]
	v_sub_f32_e32 v57, v15, v17
	v_add_f32_e32 v16, v16, v25
	v_mul_f32_e32 v53, 0x3f2c7751, v53
	v_add_f32_e32 v15, v17, v15
	s_delay_alu instid0(VALU_DEP_4) | instskip(SKIP_1) | instid1(VALU_DEP_4)
	v_dual_add_f32 v63, v129, v63 :: v_dual_mul_f32 v60, 0xbf763a35, v57
	v_add_f32_e32 v54, v54, v102
	v_fma_f32 v55, 0x3f3d2fb0, v50, -v53
	v_fmac_f32_e32 v53, 0x3f3d2fb0, v50
	v_add_f32_e32 v41, v195, v41
	v_fma_f32 v17, 0xbe8c1d8e, v59, -v60
	v_dual_mul_f32 v52, 0x3f06c442, v14 :: v_dual_add_f32 v21, v198, v56
	s_delay_alu instid0(VALU_DEP_4) | instskip(SKIP_1) | instid1(VALU_DEP_4)
	v_dual_add_f32 v24, v53, v24 :: v_dual_fmac_f32 v145, 0xbf59a7d5, v50
	v_mul_f32_e32 v50, 0xbf763a35, v14
	v_dual_add_f32 v17, v17, v26 :: v_dual_mul_f32 v26, 0x3f06c442, v57
	v_fma_f32 v28, 0xbf1a4643, v51, -v28
	v_add_f32_e32 v37, v193, v37
	s_delay_alu instid0(VALU_DEP_4) | instskip(SKIP_1) | instid1(VALU_DEP_2)
	v_fmamk_f32 v25, v15, 0xbe8c1d8e, v50
	v_fma_f32 v50, 0xbe8c1d8e, v15, -v50
	v_dual_add_f32 v28, v28, v100 :: v_dual_add_f32 v25, v25, v27
	v_fma_f32 v27, 0xbf59a7d5, v59, -v26
	s_delay_alu instid0(VALU_DEP_3) | instskip(SKIP_1) | instid1(VALU_DEP_3)
	v_add_f32_e32 v32, v50, v32
	v_fmamk_f32 v50, v15, 0xbf59a7d5, v52
	v_dual_fmac_f32 v26, 0xbf59a7d5, v59 :: v_dual_add_f32 v27, v27, v33
	v_fma_f32 v33, 0xbf59a7d5, v15, -v52
	v_dual_mul_f32 v52, 0x3f2c7751, v14 :: v_dual_add_f32 v47, v201, v61
	v_mul_f32_e32 v53, 0x3f2c7751, v57
	v_add_f32_e32 v37, v50, v37
	v_add_f32_e32 v13, v13, v29
	v_add_f32_e32 v33, v33, v39
	v_fma_f32 v29, 0xbf59a7d5, v51, -v146
	v_fma_f32 v50, 0x3f3d2fb0, v59, -v53
	v_add_f32_e32 v26, v26, v38
	v_dual_mul_f32 v38, 0xbf65296c, v57 :: v_dual_add_f32 v51, v58, v104
	s_delay_alu instid0(VALU_DEP_4) | instskip(NEXT) | instid1(VALU_DEP_4)
	v_dual_add_f32 v29, v29, v63 :: v_dual_mul_f32 v58, 0xbf65296c, v14
	v_dual_add_f32 v39, v50, v40 :: v_dual_fmamk_f32 v40, v15, 0x3f3d2fb0, v52
	v_fma_f32 v50, 0x3f3d2fb0, v15, -v52
	s_delay_alu instid0(VALU_DEP_4) | instskip(SKIP_3) | instid1(VALU_DEP_4)
	v_fma_f32 v52, 0x3ee437d1, v59, -v38
	v_fmac_f32_e32 v53, 0x3f3d2fb0, v59
	v_fmac_f32_e32 v38, 0x3ee437d1, v59
	v_dual_add_f32 v40, v40, v41 :: v_dual_add_f32 v49, v145, v62
	v_add_f32_e32 v18, v52, v18
	v_fma_f32 v52, 0x3ee437d1, v15, -v58
	s_delay_alu instid0(VALU_DEP_4) | instskip(SKIP_1) | instid1(VALU_DEP_3)
	v_dual_add_f32 v55, v55, v103 :: v_dual_add_f32 v38, v38, v44
	v_add_f32_e32 v56, v147, v99
	v_add_f32_e32 v20, v52, v20
	v_dual_mul_f32 v52, 0x3f7ee86f, v57 :: v_dual_add_f32 v41, v53, v42
	v_dual_add_f32 v42, v50, v43 :: v_dual_fmamk_f32 v43, v15, 0x3ee437d1, v58
	v_dual_mul_f32 v50, 0xbe3c28d5, v57 :: v_dual_mul_f32 v53, 0xbe3c28d5, v14
	v_mul_f32_e32 v58, 0xbeb8f4ab, v14
	s_delay_alu instid0(VALU_DEP_2)
	v_fmamk_f32 v44, v15, 0xbf7ba420, v53
	v_fmac_f32_e32 v60, 0xbe8c1d8e, v59
	v_add_f32_e32 v19, v43, v19
	v_fma_f32 v43, 0xbf7ba420, v59, -v50
	v_fmac_f32_e32 v50, 0xbf7ba420, v59
	v_add_f32_e32 v44, v44, v45
	v_fma_f32 v45, 0x3dbcf732, v59, -v52
	s_delay_alu instid0(VALU_DEP_4) | instskip(SKIP_4) | instid1(VALU_DEP_3)
	v_dual_fmac_f32 v52, 0x3dbcf732, v59 :: v_dual_add_f32 v21, v43, v21
	v_fma_f32 v43, 0xbf7ba420, v15, -v53
	v_mul_f32_e32 v53, 0x3f7ee86f, v14
	v_dual_add_f32 v22, v50, v22 :: v_dual_add_f32 v31, v60, v31
	v_mul_f32_e32 v14, 0xbf4c4adb, v14
	v_fma_f32 v50, 0x3dbcf732, v15, -v53
	s_delay_alu instid0(VALU_DEP_1) | instskip(SKIP_2) | instid1(VALU_DEP_1)
	v_add_f32_e32 v29, v50, v29
	v_dual_mul_f32 v50, 0xbf4c4adb, v57 :: v_dual_add_f32 v45, v45, v46
	v_fmamk_f32 v46, v15, 0x3dbcf732, v53
	v_dual_add_f32 v46, v46, v47 :: v_dual_add_f32 v47, v52, v49
	v_fmamk_f32 v49, v15, 0x3f6eb680, v58
	v_fma_f32 v52, 0x3f6eb680, v15, -v58
	s_delay_alu instid0(VALU_DEP_2) | instskip(NEXT) | instid1(VALU_DEP_2)
	v_dual_add_f32 v49, v49, v54 :: v_dual_fmamk_f32 v54, v15, 0xbf1a4643, v14
	v_add_f32_e32 v28, v52, v28
	v_sub_f32_e32 v52, v5, v11
	v_add_f32_e32 v23, v43, v23
	v_fma_f32 v14, 0xbf1a4643, v15, -v14
	v_mul_f32_e32 v43, 0xbeb8f4ab, v57
	v_add_f32_e32 v51, v54, v51
	v_add_f32_e32 v54, v10, v4
	v_sub_f32_e32 v4, v4, v10
	v_mul_f32_e32 v10, 0xbf4c4adb, v52
	v_add_f32_e32 v14, v14, v16
	v_fma_f32 v53, 0x3f6eb680, v59, -v43
	v_add_f32_e32 v5, v11, v5
	v_mul_f32_e32 v11, 0xbf4c4adb, v4
	v_fma_f32 v15, 0xbf1a4643, v54, -v10
	v_mul_f32_e32 v16, 0x3f763a35, v52
	v_add_f32_e32 v48, v53, v48
	v_fma_f32 v53, 0xbf1a4643, v59, -v50
	s_delay_alu instid0(VALU_DEP_4) | instskip(NEXT) | instid1(VALU_DEP_4)
	v_dual_fmac_f32 v50, 0xbf1a4643, v59 :: v_dual_add_f32 v15, v15, v17
	v_fma_f32 v17, 0xbe8c1d8e, v54, -v16
	v_fmac_f32_e32 v16, 0xbe8c1d8e, v54
	v_fmac_f32_e32 v43, 0x3f6eb680, v59
	s_delay_alu instid0(VALU_DEP_4) | instskip(SKIP_4) | instid1(VALU_DEP_4)
	v_dual_add_f32 v53, v53, v55 :: v_dual_add_f32 v24, v50, v24
	v_fmamk_f32 v50, v5, 0xbf1a4643, v11
	v_fmac_f32_e32 v10, 0xbf1a4643, v54
	v_fma_f32 v11, 0xbf1a4643, v5, -v11
	v_dual_add_f32 v16, v16, v26 :: v_dual_add_f32 v43, v43, v56
	v_dual_add_f32 v25, v50, v25 :: v_dual_mul_f32 v50, 0x3f763a35, v4
	s_delay_alu instid0(VALU_DEP_3) | instskip(SKIP_2) | instid1(VALU_DEP_4)
	v_dual_add_f32 v10, v10, v31 :: v_dual_add_f32 v11, v11, v32
	v_add_f32_e32 v17, v17, v27
	v_mul_f32_e32 v27, 0xbeb8f4ab, v52
	v_fmamk_f32 v31, v5, 0xbe8c1d8e, v50
	v_fma_f32 v32, 0xbe8c1d8e, v5, -v50
	v_mul_f32_e32 v50, 0xbeb8f4ab, v4
	s_delay_alu instid0(VALU_DEP_4) | instskip(NEXT) | instid1(VALU_DEP_3)
	v_fma_f32 v55, 0x3f6eb680, v54, -v27
	v_add_f32_e32 v26, v32, v33
	s_delay_alu instid0(VALU_DEP_2) | instskip(NEXT) | instid1(VALU_DEP_1)
	v_dual_fmamk_f32 v32, v5, 0x3f6eb680, v50 :: v_dual_add_f32 v33, v55, v39
	v_add_f32_e32 v32, v32, v40
	v_fma_f32 v39, 0x3f6eb680, v5, -v50
	s_delay_alu instid0(VALU_DEP_1) | instskip(NEXT) | instid1(VALU_DEP_1)
	v_dual_mul_f32 v40, 0xbf06c442, v4 :: v_dual_add_f32 v39, v39, v42
	v_fmamk_f32 v42, v5, 0xbf59a7d5, v40
	v_fma_f32 v40, 0xbf59a7d5, v5, -v40
	s_delay_alu instid0(VALU_DEP_1) | instskip(SKIP_2) | instid1(VALU_DEP_2)
	v_dual_add_f32 v19, v42, v19 :: v_dual_add_f32 v20, v40, v20
	v_dual_add_f32 v31, v31, v37 :: v_dual_mul_f32 v42, 0x3f7ee86f, v4
	v_mul_f32_e32 v37, 0xbf06c442, v52
	v_fmamk_f32 v40, v5, 0x3dbcf732, v42
	s_delay_alu instid0(VALU_DEP_2)
	v_fma_f32 v50, 0xbf59a7d5, v54, -v37
	v_fmac_f32_e32 v37, 0xbf59a7d5, v54
	v_fmac_f32_e32 v27, 0x3f6eb680, v54
	v_fma_f32 v42, 0x3dbcf732, v5, -v42
	v_add_f32_e32 v40, v40, v44
	v_add_f32_e32 v18, v50, v18
	v_dual_add_f32 v37, v37, v38 :: v_dual_mul_f32 v38, 0xbf2c7751, v52
	v_add_f32_e32 v27, v27, v41
	v_dual_add_f32 v23, v42, v23 :: v_dual_mul_f32 v44, 0xbe3c28d5, v52
	s_delay_alu instid0(VALU_DEP_3) | instskip(SKIP_1) | instid1(VALU_DEP_2)
	v_fma_f32 v55, 0x3f3d2fb0, v54, -v38
	v_fmac_f32_e32 v38, 0x3f3d2fb0, v54
	v_dual_mul_f32 v41, 0x3f7ee86f, v52 :: v_dual_add_f32 v42, v55, v45
	s_delay_alu instid0(VALU_DEP_2) | instskip(NEXT) | instid1(VALU_DEP_2)
	v_add_f32_e32 v38, v38, v47
	v_fma_f32 v50, 0x3dbcf732, v54, -v41
	v_fmac_f32_e32 v41, 0x3dbcf732, v54
	s_delay_alu instid0(VALU_DEP_2) | instskip(NEXT) | instid1(VALU_DEP_2)
	v_dual_add_f32 v21, v50, v21 :: v_dual_mul_f32 v50, 0xbf2c7751, v4
	v_add_f32_e32 v22, v41, v22
	s_delay_alu instid0(VALU_DEP_2) | instskip(SKIP_2) | instid1(VALU_DEP_3)
	v_fma_f32 v45, 0x3f3d2fb0, v5, -v50
	v_fmamk_f32 v41, v5, 0x3f3d2fb0, v50
	v_fma_f32 v50, 0xbf7ba420, v54, -v44
	v_dual_fmac_f32 v44, 0xbf7ba420, v54 :: v_dual_add_f32 v29, v45, v29
	v_mul_f32_e32 v45, 0x3f65296c, v52
	s_delay_alu instid0(VALU_DEP_2) | instskip(NEXT) | instid1(VALU_DEP_2)
	v_dual_add_f32 v48, v50, v48 :: v_dual_add_f32 v43, v44, v43
	v_fma_f32 v50, 0x3ee437d1, v54, -v45
	s_delay_alu instid0(VALU_DEP_1) | instskip(SKIP_3) | instid1(VALU_DEP_3)
	v_dual_add_f32 v44, v50, v53 :: v_dual_add_f32 v41, v41, v46
	v_mul_f32_e32 v46, 0xbe3c28d5, v4
	v_mul_f32_e32 v4, 0x3f65296c, v4
	v_sub_f32_e32 v50, v6, v8
	v_dual_add_f32 v6, v8, v6 :: v_dual_fmamk_f32 v47, v5, 0xbf7ba420, v46
	v_fma_f32 v46, 0xbf7ba420, v5, -v46
	s_delay_alu instid0(VALU_DEP_1) | instskip(SKIP_1) | instid1(VALU_DEP_4)
	v_add_f32_e32 v28, v46, v28
	v_sub_f32_e32 v46, v7, v9
	v_add_f32_e32 v47, v47, v49
	v_fmamk_f32 v49, v5, 0x3ee437d1, v4
	v_fma_f32 v4, 0x3ee437d1, v5, -v4
	s_delay_alu instid0(VALU_DEP_4) | instskip(SKIP_1) | instid1(VALU_DEP_3)
	v_dual_mul_f32 v8, 0xbf06c442, v46 :: v_dual_add_f32 v5, v9, v7
	v_mul_f32_e32 v7, 0xbf06c442, v50
	v_dual_add_f32 v4, v4, v14 :: v_dual_add_f32 v9, v49, v51
	s_delay_alu instid0(VALU_DEP_3) | instskip(SKIP_1) | instid1(VALU_DEP_4)
	v_fma_f32 v49, 0xbf59a7d5, v6, -v8
	v_fmac_f32_e32 v8, 0xbf59a7d5, v6
	v_fmamk_f32 v14, v5, 0xbf59a7d5, v7
	v_fmac_f32_e32 v45, 0x3ee437d1, v54
	v_mul_f32_e32 v51, 0xbf7ee86f, v50
	v_add_f32_e32 v15, v49, v15
	s_delay_alu instid0(VALU_DEP_4) | instskip(NEXT) | instid1(VALU_DEP_4)
	v_dual_mul_f32 v49, 0x3f65296c, v50 :: v_dual_add_f32 v14, v14, v25
	v_dual_add_f32 v24, v45, v24 :: v_dual_mul_f32 v45, 0x3f65296c, v46
	v_add_f32_e32 v8, v8, v10
	v_mul_f32_e32 v10, 0xbf7ee86f, v46
	s_delay_alu instid0(VALU_DEP_3) | instskip(SKIP_1) | instid1(VALU_DEP_1)
	v_fma_f32 v25, 0x3ee437d1, v6, -v45
	v_fmac_f32_e32 v45, 0x3ee437d1, v6
	v_add_f32_e32 v16, v45, v16
	v_fma_f32 v7, 0xbf59a7d5, v5, -v7
	v_fma_f32 v45, 0x3dbcf732, v5, -v51
	s_delay_alu instid0(VALU_DEP_2) | instskip(SKIP_4) | instid1(VALU_DEP_3)
	v_add_f32_e32 v7, v7, v11
	v_add_f32_e32 v11, v25, v17
	v_fmamk_f32 v17, v5, 0x3ee437d1, v49
	v_fma_f32 v25, 0x3ee437d1, v5, -v49
	v_fma_f32 v49, 0x3dbcf732, v6, -v10
	v_dual_fmac_f32 v10, 0x3dbcf732, v6 :: v_dual_add_f32 v17, v17, v31
	s_delay_alu instid0(VALU_DEP_3) | instskip(NEXT) | instid1(VALU_DEP_3)
	v_add_f32_e32 v25, v25, v26
	v_dual_add_f32 v26, v49, v33 :: v_dual_mul_f32 v49, 0x3f4c4adb, v50
	v_fmamk_f32 v31, v5, 0x3dbcf732, v51
	s_delay_alu instid0(VALU_DEP_4) | instskip(SKIP_1) | instid1(VALU_DEP_4)
	v_dual_mul_f32 v33, 0x3f4c4adb, v46 :: v_dual_add_f32 v10, v10, v27
	v_add_f32_e32 v27, v45, v39
	v_fmamk_f32 v39, v5, 0xbf1a4643, v49
	v_mul_f32_e32 v45, 0xbeb8f4ab, v46
	v_mul_f32_e32 v51, 0xbe3c28d5, v50
	s_delay_alu instid0(VALU_DEP_3) | instskip(NEXT) | instid1(VALU_DEP_3)
	v_add_f32_e32 v19, v39, v19
	v_fma_f32 v39, 0x3f6eb680, v6, -v45
	v_fmac_f32_e32 v45, 0x3f6eb680, v6
	v_add_f32_e32 v31, v31, v32
	v_fma_f32 v32, 0xbf1a4643, v6, -v33
	v_fmac_f32_e32 v33, 0xbf1a4643, v6
	s_delay_alu instid0(VALU_DEP_4) | instskip(SKIP_1) | instid1(VALU_DEP_4)
	v_dual_add_f32 v21, v39, v21 :: v_dual_add_f32 v22, v45, v22
	v_fma_f32 v45, 0xbf7ba420, v5, -v51
	v_add_f32_e32 v18, v32, v18
	v_fma_f32 v32, 0xbf1a4643, v5, -v49
	v_mul_f32_e32 v49, 0xbeb8f4ab, v50
	s_delay_alu instid0(VALU_DEP_2) | instskip(SKIP_1) | instid1(VALU_DEP_3)
	v_dual_add_f32 v37, v33, v37 :: v_dual_add_f32 v20, v32, v20
	v_mul_f32_e32 v32, 0xbe3c28d5, v46
	v_fmamk_f32 v33, v5, 0x3f6eb680, v49
	v_fma_f32 v39, 0x3f6eb680, v5, -v49
	s_delay_alu instid0(VALU_DEP_3) | instskip(NEXT) | instid1(VALU_DEP_2)
	v_fma_f32 v49, 0xbf7ba420, v6, -v32
	v_dual_add_f32 v40, v33, v40 :: v_dual_add_f32 v23, v39, v23
	v_dual_fmamk_f32 v33, v5, 0xbf7ba420, v51 :: v_dual_fmac_f32 v32, 0xbf7ba420, v6
	s_delay_alu instid0(VALU_DEP_3) | instskip(SKIP_2) | instid1(VALU_DEP_4)
	v_add_f32_e32 v39, v49, v42
	v_mul_f32_e32 v42, 0x3f2c7751, v46
	v_mul_f32_e32 v49, 0x3f2c7751, v50
	v_dual_add_f32 v41, v33, v41 :: v_dual_add_f32 v38, v32, v38
	s_delay_alu instid0(VALU_DEP_3) | instskip(SKIP_1) | instid1(VALU_DEP_4)
	v_fma_f32 v33, 0x3f3d2fb0, v6, -v42
	v_fmac_f32_e32 v42, 0x3f3d2fb0, v6
	v_fmamk_f32 v32, v5, 0x3f3d2fb0, v49
	s_delay_alu instid0(VALU_DEP_2)
	v_add_f32_e32 v42, v42, v43
	v_sub_f32_e32 v43, v1, v3
	v_add_f32_e32 v29, v45, v29
	v_dual_mul_f32 v45, 0xbf763a35, v46 :: v_dual_add_f32 v46, v33, v48
	v_dual_mul_f32 v48, 0xbf763a35, v50 :: v_dual_add_f32 v47, v32, v47
	v_sub_f32_e32 v50, v0, v2
	s_delay_alu instid0(VALU_DEP_3) | instskip(SKIP_3) | instid1(VALU_DEP_4)
	v_fma_f32 v32, 0xbe8c1d8e, v6, -v45
	v_fma_f32 v33, 0x3f3d2fb0, v5, -v49
	v_dual_add_f32 v49, v2, v0 :: v_dual_mul_f32 v2, 0xbe3c28d5, v43
	v_fma_f32 v0, 0xbe8c1d8e, v5, -v48
	v_add_f32_e32 v44, v32, v44
	v_fmamk_f32 v32, v5, 0xbe8c1d8e, v48
	v_dual_add_f32 v48, v3, v1 :: v_dual_mul_f32 v1, 0xbe3c28d5, v50
	v_fma_f32 v3, 0xbf7ba420, v49, -v2
	v_dual_add_f32 v52, v0, v4 :: v_dual_mul_f32 v5, 0x3eb8f4ab, v43
	v_fmac_f32_e32 v2, 0xbf7ba420, v49
	s_delay_alu instid0(VALU_DEP_4) | instskip(SKIP_3) | instid1(VALU_DEP_4)
	v_fmamk_f32 v4, v48, 0xbf7ba420, v1
	v_fmac_f32_e32 v45, 0xbe8c1d8e, v6
	v_dual_add_f32 v51, v32, v9 :: v_dual_add_f32 v0, v3, v15
	v_fma_f32 v3, 0xbf7ba420, v48, -v1
	v_add_f32_e32 v1, v4, v14
	v_mul_f32_e32 v4, 0x3eb8f4ab, v50
	v_fma_f32 v6, 0x3f6eb680, v49, -v5
	v_add_f32_e32 v32, v2, v8
	v_mul_f32_e32 v8, 0xbf06c442, v43
	v_dual_add_f32 v28, v33, v28 :: v_dual_fmac_f32 v5, 0x3f6eb680, v49
	s_delay_alu instid0(VALU_DEP_4)
	v_add_f32_e32 v2, v6, v11
	v_fma_f32 v6, 0x3f6eb680, v48, -v4
	v_mul_f32_e32 v11, 0x3f2c7751, v50
	v_add_f32_e32 v33, v3, v7
	v_fma_f32 v7, 0xbf59a7d5, v49, -v8
	v_dual_fmamk_f32 v3, v48, 0x3f6eb680, v4 :: v_dual_add_f32 v4, v5, v16
	s_delay_alu instid0(VALU_DEP_4) | instskip(NEXT) | instid1(VALU_DEP_3)
	v_dual_add_f32 v5, v6, v25 :: v_dual_fmamk_f32 v16, v48, 0x3f3d2fb0, v11
	v_add_f32_e32 v6, v7, v26
	v_mul_f32_e32 v26, 0xbf763a35, v43
	v_mul_f32_e32 v14, 0x3f2c7751, v43
	v_fmac_f32_e32 v8, 0xbf59a7d5, v49
	v_mul_f32_e32 v9, 0xbf06c442, v50
	v_mul_f32_e32 v25, 0x3f65296c, v50
	s_delay_alu instid0(VALU_DEP_4) | instskip(SKIP_2) | instid1(VALU_DEP_3)
	v_fma_f32 v15, 0x3f3d2fb0, v49, -v14
	v_fmac_f32_e32 v14, 0x3f3d2fb0, v49
	v_add_f32_e32 v8, v8, v10
	v_add_f32_e32 v10, v15, v18
	s_delay_alu instid0(VALU_DEP_3)
	v_dual_add_f32 v14, v14, v37 :: v_dual_add_f32 v45, v45, v24
	v_mul_f32_e32 v18, 0xbf4c4adb, v43
	v_fma_f32 v15, 0x3f3d2fb0, v48, -v11
	v_add_f32_e32 v11, v16, v19
	v_mul_f32_e32 v24, 0x3f65296c, v43
	v_mul_lo_u16 v37, v34, 17
	v_fma_f32 v16, 0xbf1a4643, v49, -v18
	v_dual_add_f32 v15, v15, v20 :: v_dual_fmac_f32 v18, 0xbf1a4643, v49
                                        ; implicit-def: $vgpr34
	s_delay_alu instid0(VALU_DEP_2) | instskip(SKIP_1) | instid1(VALU_DEP_3)
	v_add_f32_e32 v16, v16, v21
	v_fma_f32 v21, 0x3ee437d1, v49, -v24
	v_dual_add_f32 v18, v18, v22 :: v_dual_add_f32 v3, v3, v17
	v_mul_f32_e32 v17, 0xbf4c4adb, v50
	v_fmac_f32_e32 v24, 0x3ee437d1, v49
	s_delay_alu instid0(VALU_DEP_2) | instskip(SKIP_1) | instid1(VALU_DEP_2)
	v_fmamk_f32 v19, v48, 0xbf1a4643, v17
	v_fma_f32 v20, 0xbf1a4643, v48, -v17
	v_dual_add_f32 v22, v24, v38 :: v_dual_add_f32 v17, v19, v40
	s_delay_alu instid0(VALU_DEP_2)
	v_add_f32_e32 v19, v20, v23
	v_dual_add_f32 v20, v21, v39 :: v_dual_fmamk_f32 v21, v48, 0x3ee437d1, v25
	v_fma_f32 v23, 0x3ee437d1, v48, -v25
	v_fma_f32 v25, 0xbe8c1d8e, v49, -v26
	v_fmamk_f32 v7, v48, 0xbf59a7d5, v9
	v_fma_f32 v9, 0xbf59a7d5, v48, -v9
	v_and_b32_e32 v39, 0xffff, v37
	s_delay_alu instid0(VALU_DEP_4) | instskip(NEXT) | instid1(VALU_DEP_4)
	v_dual_add_f32 v23, v23, v29 :: v_dual_add_f32 v24, v25, v46
	v_dual_add_f32 v7, v7, v31 :: v_dual_fmac_f32 v26, 0xbe8c1d8e, v49
	s_delay_alu instid0(VALU_DEP_4) | instskip(SKIP_4) | instid1(VALU_DEP_4)
	v_add_f32_e32 v9, v9, v27
	v_mul_f32_e32 v27, 0xbf763a35, v50
	v_mul_f32_e32 v29, 0x3f7ee86f, v50
	v_add_f32_e32 v21, v21, v41
	v_lshl_add_u32 v144, v39, 3, v143
	v_dual_add_f32 v26, v26, v42 :: v_dual_fmamk_f32 v31, v48, 0xbe8c1d8e, v27
	s_delay_alu instid0(VALU_DEP_4) | instskip(SKIP_2) | instid1(VALU_DEP_4)
	v_fmamk_f32 v38, v48, 0x3dbcf732, v29
	v_fma_f32 v27, 0xbe8c1d8e, v48, -v27
	v_fma_f32 v40, 0x3dbcf732, v48, -v29
	v_add_f32_e32 v25, v31, v47
	v_mul_f32_e32 v31, 0x3f7ee86f, v43
	s_delay_alu instid0(VALU_DEP_4) | instskip(NEXT) | instid1(VALU_DEP_4)
	v_add_f32_e32 v27, v27, v28
	v_dual_add_f32 v29, v38, v51 :: v_dual_add_f32 v38, v40, v52
	s_delay_alu instid0(VALU_DEP_3) | instskip(NEXT) | instid1(VALU_DEP_1)
	v_fma_f32 v28, 0x3dbcf732, v49, -v31
	v_dual_fmac_f32 v31, 0x3dbcf732, v49 :: v_dual_add_f32 v28, v28, v44
	s_delay_alu instid0(VALU_DEP_1)
	v_add_f32_e32 v37, v31, v45
	ds_store_2addr_b64 v144, v[12:13], v[0:1] offset1:1
	ds_store_2addr_b64 v144, v[2:3], v[6:7] offset0:2 offset1:3
	ds_store_2addr_b64 v144, v[10:11], v[16:17] offset0:4 offset1:5
	;; [unrolled: 1-line block ×7, first 2 shown]
	ds_store_b64 v144, v[32:33] offset:128
	v_add_nc_u32_e32 v8, 0x1400, v142
	v_add_nc_u32_e32 v20, 0x1c00, v142
	s_waitcnt lgkmcnt(0)
	s_barrier
	buffer_gl0_inv
	ds_load_2addr_b64 v[4:7], v142 offset1:68
	ds_load_2addr_b64 v[16:19], v30 offset0:66 offset1:134
	ds_load_2addr_b64 v[0:3], v142 offset0:136 offset1:204
	;; [unrolled: 1-line block ×7, first 2 shown]
	s_and_saveexec_b32 s0, vcc_lo
	s_cbranch_execz .LBB0_3
; %bb.2:
	ds_load_b64 v[32:33], v142 offset:4352
	ds_load_b64 v[34:35], v142 offset:8976
.LBB0_3:
	s_or_b32 exec_lo, exec_lo, s0
	v_add_nc_u16 v36, v141, 0x44
	v_add_nc_u16 v37, v141, 0x88
	v_add_co_u32 v38, null, 0xcc, v141
	v_and_b32_e32 v39, 0xff, v141
	s_delay_alu instid0(VALU_DEP_4) | instskip(NEXT) | instid1(VALU_DEP_4)
	v_and_b32_e32 v40, 0xff, v36
	v_and_b32_e32 v41, 0xff, v37
	s_delay_alu instid0(VALU_DEP_4)
	v_and_b32_e32 v42, 0xffff, v38
	v_add_co_u32 v43, null, 0x110, v141
	v_mul_lo_u16 v39, 0xf1, v39
	v_mul_lo_u16 v40, 0xf1, v40
	;; [unrolled: 1-line block ×3, first 2 shown]
	v_mul_u32_u24_e32 v42, 0xf0f1, v42
	v_add_co_u32 v49, null, 0x198, v141
	v_lshrrev_b16 v39, 12, v39
	v_lshrrev_b16 v40, 12, v40
	;; [unrolled: 1-line block ×3, first 2 shown]
	v_lshrrev_b32_e32 v42, 20, v42
	v_add_co_u32 v44, null, 0x154, v141
	v_mul_lo_u16 v45, v39, 17
	v_mul_lo_u16 v46, v40, 17
	;; [unrolled: 1-line block ×4, first 2 shown]
	v_add_co_u32 v119, s0, 0x220, v141
	v_sub_nc_u16 v45, v141, v45
	v_sub_nc_u16 v36, v36, v46
	;; [unrolled: 1-line block ×4, first 2 shown]
	v_and_b32_e32 v53, 0xffff, v44
	v_and_b32_e32 v47, 0xff, v45
	;; [unrolled: 1-line block ×5, first 2 shown]
	v_add_co_u32 v46, null, 0x1dc, v141
	v_lshlrev_b32_e32 v47, 3, v47
	v_lshlrev_b32_e32 v50, 3, v36
	;; [unrolled: 1-line block ×4, first 2 shown]
	s_clause 0x3
	global_load_b64 v[105:106], v47, s[10:11]
	global_load_b64 v[103:104], v50, s[10:11]
	;; [unrolled: 1-line block ×4, first 2 shown]
	v_and_b32_e32 v52, 0xffff, v43
	v_and_b32_e32 v47, 0xffff, v49
	v_mul_u32_u24_e32 v51, 0xf0f1, v53
	v_mad_u16 v39, v39, 34, v45
	v_mad_u16 v38, v42, 34, v38
	v_mul_u32_u24_e32 v48, 0xf0f1, v52
	v_and_b32_e32 v52, 0xffff, v119
	v_mul_u32_u24_e32 v47, 0xf0f1, v47
	v_lshrrev_b32_e32 v51, 20, v51
	v_and_b32_e32 v39, 0xff, v39
	v_lshrrev_b32_e32 v48, 20, v48
	v_mul_u32_u24_e32 v52, 0xf0f1, v52
	v_lshrrev_b32_e32 v47, 20, v47
	v_mul_lo_u16 v54, v51, 17
	v_and_b32_e32 v40, 0xffff, v40
	v_mul_lo_u16 v53, v48, 17
	v_lshrrev_b32_e32 v55, 20, v52
	v_mul_lo_u16 v52, v47, 17
	v_sub_nc_u16 v44, v44, v54
	v_lshl_add_u32 v57, v39, 3, v143
	v_sub_nc_u16 v43, v43, v53
	v_mul_lo_u16 v54, v55, 17
	v_sub_nc_u16 v49, v49, v52
	v_mul_u32_u24_e32 v40, 34, v40
	v_add_co_ci_u32_e64 v120, null, 0, 0, s0
	v_and_b32_e32 v52, 0xffff, v43
	v_mad_u16 v42, v48, 34, v43
	v_sub_nc_u16 v56, v119, v54
	scratch_store_b32 off, v55, off offset:72 ; 4-byte Folded Spill
	v_mad_u16 v43, v51, 34, v44
	v_lshlrev_b32_e32 v52, 3, v52
	v_and_b32_e32 v39, 0xffff, v42
	v_and_b32_e32 v54, 0xffff, v49
	scratch_store_b32 off, v56, off offset:76 ; 4-byte Folded Spill
	global_load_b64 v[115:116], v52, s[10:11]
	v_and_b32_e32 v50, 0xffff, v46
	s_delay_alu instid0(VALU_DEP_1) | instskip(NEXT) | instid1(VALU_DEP_1)
	v_mul_u32_u24_e32 v50, 0xf0f1, v50
	v_lshrrev_b32_e32 v50, 20, v50
	s_delay_alu instid0(VALU_DEP_1) | instskip(NEXT) | instid1(VALU_DEP_1)
	v_mul_lo_u16 v53, v50, 17
	v_sub_nc_u16 v46, v46, v53
	v_and_b32_e32 v53, 0xffff, v44
	v_mad_u16 v44, v47, 34, v49
	s_delay_alu instid0(VALU_DEP_3) | instskip(NEXT) | instid1(VALU_DEP_3)
	v_and_b32_e32 v55, 0xffff, v46
	v_lshlrev_b32_e32 v53, 3, v53
	v_mad_u16 v45, v50, 34, v46
	global_load_b64 v[113:114], v53, s[10:11]
	v_lshlrev_b32_e32 v52, 3, v55
	v_lshl_add_u32 v55, v39, 3, v143
	s_waitcnt vmcnt(3) lgkmcnt(4)
	v_mul_f32_e32 v39, v28, v102
	v_add_nc_u32_e32 v36, v40, v36
	s_delay_alu instid0(VALU_DEP_2) | instskip(SKIP_2) | instid1(VALU_DEP_1)
	v_dual_fmac_f32 v39, v29, v101 :: v_dual_and_b32 v40, 0xffff, v43
	s_waitcnt vmcnt(1) lgkmcnt(2)
	v_dual_mul_f32 v43, v24, v116 :: v_dual_and_b32 v42, 0xffff, v45
	v_dual_fmac_f32 v43, v25, v115 :: v_dual_and_b32 v56, 0xffff, v56
	s_delay_alu instid0(VALU_DEP_1) | instskip(SKIP_2) | instid1(VALU_DEP_1)
	v_lshlrev_b32_e32 v53, 3, v56
	s_waitcnt vmcnt(0)
	v_mul_f32_e32 v45, v26, v114
	v_dual_fmac_f32 v45, v27, v113 :: v_dual_lshlrev_b32 v54, 3, v54
	s_clause 0x2
	global_load_b64 v[111:112], v54, s[10:11]
	global_load_b64 v[109:110], v52, s[10:11]
	;; [unrolled: 1-line block ×3, first 2 shown]
	v_lshl_add_u32 v54, v40, 3, v143
	v_mul_f32_e32 v40, v31, v100
	s_waitcnt vmcnt(0) lgkmcnt(0)
	s_waitcnt_vscnt null, 0x0
	s_barrier
	buffer_gl0_inv
	v_mul_f32_e32 v47, v20, v112
	v_mul_f32_e32 v46, v21, v112
	v_dual_mul_f32 v51, v34, v108 :: v_dual_and_b32 v38, 0xffff, v38
	v_mul_f32_e32 v49, v22, v110
	s_delay_alu instid0(VALU_DEP_4) | instskip(SKIP_1) | instid1(VALU_DEP_4)
	v_fmac_f32_e32 v47, v21, v111
	v_sub_f32_e32 v21, v1, v39
	v_fmac_f32_e32 v51, v35, v107
	v_lshl_add_u32 v56, v38, 3, v143
	v_mul_f32_e32 v38, v29, v102
	v_lshl_add_u32 v52, v42, 3, v143
	v_dual_mul_f32 v42, v25, v116 :: v_dual_fmac_f32 v49, v23, v109
	v_lshl_add_u32 v59, v36, 3, v143
	s_delay_alu instid0(VALU_DEP_4) | instskip(SKIP_1) | instid1(VALU_DEP_4)
	v_fma_f32 v28, v28, v101, -v38
	v_and_b32_e32 v41, 0xffff, v41
	v_fma_f32 v24, v24, v115, -v42
	v_mul_f32_e32 v36, v17, v106
	v_mul_f32_e32 v48, v23, v110
	;; [unrolled: 1-line block ×3, first 2 shown]
	v_mul_u32_u24_e32 v41, 34, v41
	v_sub_f32_e32 v24, v12, v24
	v_fma_f32 v29, v30, v99, -v40
	v_sub_f32_e32 v25, v13, v43
	v_fma_f32 v34, v34, v107, -v50
	v_add_nc_u32_e32 v37, v41, v37
	v_dual_mul_f32 v44, v27, v114 :: v_dual_and_b32 v41, 0xffff, v44
	v_dual_sub_f32 v27, v15, v45 :: v_dual_sub_f32 v138, v33, v51
	s_delay_alu instid0(VALU_DEP_3) | instskip(SKIP_1) | instid1(VALU_DEP_4)
	v_lshl_add_u32 v58, v37, 3, v143
	v_mul_f32_e32 v37, v16, v106
	v_fma_f32 v26, v26, v113, -v44
	v_fma_f32 v16, v16, v105, -v36
	v_dual_mul_f32 v36, v18, v104 :: v_dual_sub_f32 v137, v32, v34
	s_delay_alu instid0(VALU_DEP_4) | instskip(NEXT) | instid1(VALU_DEP_4)
	v_fmac_f32_e32 v37, v17, v105
	v_dual_mul_f32 v17, v19, v104 :: v_dual_sub_f32 v26, v14, v26
	v_lshl_add_u32 v53, v41, 3, v143
	s_delay_alu instid0(VALU_DEP_4) | instskip(NEXT) | instid1(VALU_DEP_3)
	v_dual_mul_f32 v41, v30, v100 :: v_dual_fmac_f32 v36, v19, v103
	v_fma_f32 v18, v18, v103, -v17
	v_fma_f32 v30, v20, v111, -v46
	s_delay_alu instid0(VALU_DEP_3) | instskip(SKIP_1) | instid1(VALU_DEP_4)
	v_dual_sub_f32 v16, v4, v16 :: v_dual_fmac_f32 v41, v31, v99
	v_fma_f32 v31, v22, v109, -v48
	v_dual_sub_f32 v17, v5, v37 :: v_dual_sub_f32 v18, v6, v18
	v_sub_f32_e32 v19, v7, v36
	v_sub_f32_e32 v20, v0, v28
	v_sub_f32_e32 v22, v2, v29
	v_dual_sub_f32 v23, v3, v41 :: v_dual_sub_f32 v28, v8, v30
	v_sub_f32_e32 v29, v9, v47
	v_dual_sub_f32 v30, v10, v31 :: v_dual_sub_f32 v31, v11, v49
	v_fma_f32 v4, v4, 2.0, -v16
	v_fma_f32 v5, v5, 2.0, -v17
	;; [unrolled: 1-line block ×16, first 2 shown]
	s_clause 0x1
	scratch_store_b32 off, v57, off offset:100
	scratch_store_b32 off, v58, off offset:104
	ds_store_2addr_b64 v57, v[4:5], v[16:17] offset1:17
	scratch_store_b32 off, v59, off offset:108 ; 4-byte Folded Spill
	ds_store_2addr_b64 v59, v[6:7], v[18:19] offset1:17
	ds_store_2addr_b64 v58, v[0:1], v[20:21] offset1:17
	s_clause 0x4
	scratch_store_b32 off, v56, off offset:96
	scratch_store_b32 off, v55, off offset:92
	;; [unrolled: 1-line block ×5, first 2 shown]
	ds_store_2addr_b64 v56, v[2:3], v[22:23] offset1:17
	ds_store_2addr_b64 v55, v[12:13], v[24:25] offset1:17
	;; [unrolled: 1-line block ×5, first 2 shown]
	s_and_saveexec_b32 s0, vcc_lo
	s_cbranch_execz .LBB0_5
; %bb.4:
	s_clause 0x1
	scratch_load_b32 v0, off, off offset:72
	scratch_load_b32 v1, off, off offset:76
	s_waitcnt vmcnt(0)
	v_mad_u16 v0, v0, 34, v1
	v_fma_f32 v1, v33, 2.0, -v138
	s_delay_alu instid0(VALU_DEP_2) | instskip(SKIP_1) | instid1(VALU_DEP_2)
	v_and_b32_e32 v2, 0xffff, v0
	v_fma_f32 v0, v32, 2.0, -v137
	v_lshl_add_u32 v2, v2, 3, v143
	ds_store_2addr_b64 v2, v[0:1], v[137:138] offset1:17
.LBB0_5:
	s_or_b32 exec_lo, exec_lo, s0
	v_add_co_u32 v133, s0, 0xffffffde, v141
	s_delay_alu instid0(VALU_DEP_1) | instskip(SKIP_2) | instid1(VALU_DEP_2)
	v_add_co_ci_u32_e64 v134, null, 0, -1, s0
	s_waitcnt lgkmcnt(0)
	s_waitcnt_vscnt null, 0x0
	v_dual_cndmask_b32 v32, v133, v141 :: v_dual_add_nc_u32 v159, 0x800, v142
	s_delay_alu instid0(VALU_DEP_2)
	v_cndmask_b32_e64 v33, v134, 0, vcc_lo
	s_barrier
	buffer_gl0_inv
	v_add_nc_u32_e32 v36, 0x1000, v142
	v_add_nc_u32_e32 v37, 0x1800, v142
	v_lshlrev_b64 v[0:1], 7, v[32:33]
	s_delay_alu instid0(VALU_DEP_1) | instskip(NEXT) | instid1(VALU_DEP_1)
	v_add_co_u32 v33, s0, s10, v0
	v_add_co_ci_u32_e64 v34, s0, s11, v1, s0
	v_cmp_lt_u16_e64 s0, 33, v141
	s_clause 0x3
	global_load_b128 v[0:3], v[33:34], off offset:136
	global_load_b128 v[28:31], v[33:34], off offset:152
	;; [unrolled: 1-line block ×4, first 2 shown]
	ds_load_2addr_b64 v[8:11], v142 offset0:136 offset1:204
	ds_load_2addr_b64 v[12:15], v159 offset0:16 offset1:84
	;; [unrolled: 1-line block ×3, first 2 shown]
	s_waitcnt vmcnt(2) lgkmcnt(2)
	v_dual_mul_f32 v20, v9, v3 :: v_dual_mul_f32 v21, v11, v29
	v_dual_mul_f32 v38, v8, v3 :: v_dual_mul_f32 v39, v10, v29
	s_waitcnt lgkmcnt(1)
	v_mul_f32_e32 v22, v13, v31
	s_waitcnt vmcnt(1)
	v_dual_mul_f32 v40, v12, v31 :: v_dual_mul_f32 v41, v14, v25
	v_fma_f32 v44, v10, v28, -v21
	s_waitcnt lgkmcnt(0)
	v_dual_fmac_f32 v39, v11, v28 :: v_dual_mul_f32 v42, v16, v27
	s_waitcnt vmcnt(0)
	v_mul_f32_e32 v45, v18, v5
	v_fma_f32 v46, v12, v30, -v22
	v_fmac_f32_e32 v40, v13, v30
	ds_load_2addr_b64 v[10:13], v36 offset0:32 offset1:100
	v_fma_f32 v43, v8, v2, -v20
	v_fmac_f32_e32 v45, v19, v4
	v_mul_f32_e32 v8, v15, v25
	v_dual_fmac_f32 v38, v9, v2 :: v_dual_fmac_f32 v41, v15, v24
	v_mul_f32_e32 v9, v17, v27
	v_fmac_f32_e32 v42, v17, v26
	s_delay_alu instid0(VALU_DEP_4) | instskip(SKIP_1) | instid1(VALU_DEP_4)
	v_fma_f32 v47, v14, v24, -v8
	v_mul_f32_e32 v8, v19, v5
	v_fma_f32 v48, v16, v26, -v9
	s_waitcnt lgkmcnt(0)
	v_mul_f32_e32 v51, v10, v7
	s_delay_alu instid0(VALU_DEP_3) | instskip(SKIP_1) | instid1(VALU_DEP_3)
	v_fma_f32 v49, v18, v4, -v8
	v_mul_f32_e32 v8, v11, v7
	v_fmac_f32_e32 v51, v11, v6
	s_delay_alu instid0(VALU_DEP_2)
	v_fma_f32 v50, v10, v6, -v8
	s_clause 0x1
	global_load_b128 v[16:19], v[33:34], off offset:200
	global_load_b128 v[8:11], v[33:34], off offset:216
	ds_load_2addr_b64 v[59:62], v37 offset0:48 offset1:116
	s_waitcnt vmcnt(1)
	v_mul_f32_e32 v14, v13, v17
	v_mul_f32_e32 v53, v12, v17
	s_delay_alu instid0(VALU_DEP_2) | instskip(NEXT) | instid1(VALU_DEP_2)
	v_fma_f32 v52, v12, v16, -v14
	v_fmac_f32_e32 v53, v13, v16
	ds_load_2addr_b64 v[12:15], v36 offset0:168 offset1:236
	v_sub_f32_e32 v180, v50, v52
	s_delay_alu instid0(VALU_DEP_1)
	v_mul_f32_e32 v197, 0x3f7ee86f, v180
	v_mul_f32_e32 v200, 0x3f65296c, v180
	;; [unrolled: 1-line block ×4, first 2 shown]
	s_waitcnt vmcnt(0) lgkmcnt(0)
	v_dual_mul_f32 v20, v13, v19 :: v_dual_mul_f32 v57, v14, v9
	v_mul_f32_e32 v55, v12, v19
	s_delay_alu instid0(VALU_DEP_2) | instskip(NEXT) | instid1(VALU_DEP_2)
	v_fma_f32 v54, v12, v18, -v20
	v_dual_mul_f32 v12, v15, v9 :: v_dual_fmac_f32 v55, v13, v18
	s_delay_alu instid0(VALU_DEP_2) | instskip(NEXT) | instid1(VALU_DEP_2)
	v_dual_fmac_f32 v57, v15, v8 :: v_dual_sub_f32 v174, v49, v54
	v_fma_f32 v56, v14, v8, -v12
	v_mul_f32_e32 v12, v60, v11
	s_delay_alu instid0(VALU_DEP_3) | instskip(NEXT) | instid1(VALU_DEP_3)
	v_dual_sub_f32 v172, v45, v55 :: v_dual_sub_f32 v169, v42, v57
	v_dual_mul_f32 v195, 0xbf763a35, v174 :: v_dual_sub_f32 v170, v48, v56
	s_delay_alu instid0(VALU_DEP_3)
	v_fma_f32 v58, v59, v10, -v12
	s_clause 0x1
	global_load_b128 v[20:23], v[33:34], off offset:232
	global_load_b128 v[12:15], v[33:34], off offset:248
	ds_load_2addr_b64 v[122:125], v37 offset0:184 offset1:252
	v_dual_mul_f32 v59, v59, v11 :: v_dual_mul_f32 v188, 0x3f65296c, v170
	v_sub_f32_e32 v168, v47, v58
	v_mul_f32_e32 v194, 0xbf763a35, v172
	v_mul_f32_e32 v187, 0x3f65296c, v169
	s_delay_alu instid0(VALU_DEP_4)
	v_fmac_f32_e32 v59, v60, v10
	v_mul_f32_e32 v228, 0xbf06c442, v170
	v_mul_f32_e32 v186, 0xbf4c4adb, v168
	v_mul_f32_e32 v226, 0xbf65296c, v168
	v_mul_f32_e32 v230, 0x3f4c4adb, v174
	v_mul_f32_e32 v148, 0x3f06c442, v168
	v_mul_f32_e32 v150, 0x3f763a35, v170
	s_waitcnt vmcnt(1)
	v_dual_mul_f32 v152, 0x3f65296c, v174 :: v_dual_mul_f32 v33, v62, v21
	s_waitcnt lgkmcnt(0)
	v_mul_f32_e32 v63, v122, v23
	s_delay_alu instid0(VALU_DEP_2) | instskip(SKIP_2) | instid1(VALU_DEP_3)
	v_fma_f32 v60, v61, v20, -v33
	v_mul_f32_e32 v61, v61, v21
	v_mul_f32_e32 v33, v123, v23
	v_sub_f32_e32 v165, v46, v60
	s_delay_alu instid0(VALU_DEP_3) | instskip(NEXT) | instid1(VALU_DEP_3)
	v_fmac_f32_e32 v61, v62, v20
	v_fma_f32 v62, v122, v22, -v33
	s_waitcnt vmcnt(0)
	v_mul_f32_e32 v33, v125, v13
	v_mul_f32_e32 v184, 0x3f2c7751, v165
	s_delay_alu instid0(VALU_DEP_3) | instskip(NEXT) | instid1(VALU_DEP_3)
	v_dual_mul_f32 v224, 0x3eb8f4ab, v165 :: v_dual_sub_f32 v163, v44, v62
	v_fma_f32 v122, v124, v12, -v33
	v_cndmask_b32_e64 v33, 0, 0x242, s0
	v_mul_f32_e32 v145, 0xbe3c28d5, v165
	s_delay_alu instid0(VALU_DEP_4) | instskip(NEXT) | instid1(VALU_DEP_4)
	v_mul_f32_e32 v181, 0xbf06c442, v163
	v_sub_f32_e32 v161, v43, v122
	s_delay_alu instid0(VALU_DEP_4)
	v_add_nc_u32_e32 v157, v32, v33
	ds_load_b64 v[32:33], v142 offset:8704
	v_mul_f32_e32 v175, 0x3eb8f4ab, v161
	v_mul_f32_e32 v204, 0x3f65296c, v161
	;; [unrolled: 1-line block ×6, first 2 shown]
	s_waitcnt lgkmcnt(0)
	v_mul_f32_e32 v34, v33, v15
	v_mul_f32_e32 v158, v32, v15
	s_delay_alu instid0(VALU_DEP_2) | instskip(NEXT) | instid1(VALU_DEP_2)
	v_fma_f32 v140, v32, v14, -v34
	v_fmac_f32_e32 v158, v33, v14
	ds_load_2addr_b64 v[32:35], v142 offset1:68
	s_waitcnt lgkmcnt(0)
	s_barrier
	buffer_gl0_inv
	v_mul_f32_e32 v182, v34, v1
	v_sub_f32_e32 v166, v41, v59
	s_delay_alu instid0(VALU_DEP_2) | instskip(SKIP_1) | instid1(VALU_DEP_3)
	v_fmac_f32_e32 v182, v35, v0
	v_mul_f32_e32 v35, v35, v1
	v_mul_f32_e32 v185, 0xbf4c4adb, v166
	s_delay_alu instid0(VALU_DEP_3) | instskip(NEXT) | instid1(VALU_DEP_3)
	v_sub_f32_e32 v190, v182, v158
	v_fma_f32 v189, v34, v0, -v35
	v_add_f32_e32 v193, v182, v158
	v_add_f32_e32 v182, v33, v182
	s_delay_alu instid0(VALU_DEP_3)
	v_dual_mul_f32 v167, 0xbe3c28d5, v190 :: v_dual_sub_f32 v192, v189, v140
	v_fmac_f32_e32 v63, v123, v22
	v_mul_f32_e32 v123, v124, v13
	v_add_f32_e32 v191, v189, v140
	v_add_f32_e32 v189, v32, v189
	v_mul_f32_e32 v173, 0xbe3c28d5, v192
	v_mul_f32_e32 v203, 0xbf06c442, v192
	v_fmac_f32_e32 v123, v125, v12
	v_fma_f32 v34, 0xbf7ba420, v191, -v167
	v_mul_f32_e32 v67, 0xbf65296c, v192
	v_mul_f32_e32 v219, 0xbf7ee86f, v192
	s_delay_alu instid0(VALU_DEP_4) | instskip(NEXT) | instid1(VALU_DEP_4)
	v_dual_mul_f32 v235, 0xbf763a35, v192 :: v_dual_sub_f32 v160, v38, v123
	v_add_f32_e32 v35, v32, v34
	v_add_f32_e32 v34, v43, v122
	v_sub_f32_e32 v162, v39, v63
	s_delay_alu instid0(VALU_DEP_4) | instskip(SKIP_2) | instid1(VALU_DEP_4)
	v_dual_sub_f32 v164, v40, v61 :: v_dual_mul_f32 v171, 0x3eb8f4ab, v160
	v_fma_f32 v68, 0x3ee437d1, v193, -v67
	v_mul_f32_e32 v251, 0xbf2c7751, v192
	v_mul_f32_e32 v179, 0xbf06c442, v162
	s_delay_alu instid0(VALU_DEP_4) | instskip(SKIP_2) | instid1(VALU_DEP_2)
	v_mul_f32_e32 v183, 0x3f2c7751, v164
	v_fma_f32 v124, 0x3f6eb680, v34, -v171
	v_add_f32_e32 v68, v33, v68
	v_dual_mul_f32 v82, 0xbeb8f4ab, v192 :: v_dual_add_f32 v125, v124, v35
	v_fmamk_f32 v35, v193, 0xbf7ba420, v173
	s_delay_alu instid0(VALU_DEP_1) | instskip(SKIP_1) | instid1(VALU_DEP_1)
	v_add_f32_e32 v124, v33, v35
	v_add_f32_e32 v35, v38, v123
	v_fmamk_f32 v126, v35, 0x3f6eb680, v175
	s_delay_alu instid0(VALU_DEP_1) | instskip(SKIP_3) | instid1(VALU_DEP_3)
	v_add_f32_e32 v126, v126, v124
	v_add_f32_e32 v124, v44, v62
	v_fmac_f32_e32 v171, 0x3f6eb680, v34
	v_lshl_add_u32 v157, v157, 3, v143
	v_fma_f32 v127, 0xbf59a7d5, v124, -v179
	s_delay_alu instid0(VALU_DEP_1) | instskip(SKIP_1) | instid1(VALU_DEP_1)
	v_add_f32_e32 v127, v127, v125
	v_add_f32_e32 v125, v39, v63
	v_fmamk_f32 v128, v125, 0xbf59a7d5, v181
	s_delay_alu instid0(VALU_DEP_1) | instskip(SKIP_1) | instid1(VALU_DEP_1)
	v_add_f32_e32 v128, v128, v126
	v_dual_add_f32 v126, v46, v60 :: v_dual_fmac_f32 v167, 0xbf7ba420, v191
	v_fma_f32 v129, 0x3f3d2fb0, v126, -v183
	s_delay_alu instid0(VALU_DEP_2) | instskip(SKIP_1) | instid1(VALU_DEP_3)
	v_add_f32_e32 v167, v32, v167
	v_fmac_f32_e32 v183, 0x3f3d2fb0, v126
	v_add_f32_e32 v129, v129, v127
	v_add_f32_e32 v127, v40, v61
	s_delay_alu instid0(VALU_DEP_4) | instskip(NEXT) | instid1(VALU_DEP_2)
	v_add_f32_e32 v167, v171, v167
	v_fmamk_f32 v130, v127, 0x3f3d2fb0, v184
	v_fma_f32 v205, 0x3ee437d1, v35, -v204
	v_fma_f32 v237, 0xbf59a7d5, v35, -v236
	;; [unrolled: 1-line block ×3, first 2 shown]
	s_delay_alu instid0(VALU_DEP_4) | instskip(SKIP_2) | instid1(VALU_DEP_4)
	v_add_f32_e32 v130, v130, v128
	v_add_f32_e32 v128, v47, v58
	v_fma_f32 v171, 0xbf7ba420, v193, -v173
	v_add_f32_e32 v68, v70, v68
	v_mul_f32_e32 v70, 0x3e3c28d5, v162
	s_delay_alu instid0(VALU_DEP_4) | instskip(NEXT) | instid1(VALU_DEP_4)
	v_fma_f32 v131, 0xbf1a4643, v128, -v185
	v_add_f32_e32 v171, v33, v171
	v_fmac_f32_e32 v185, 0xbf1a4643, v128
	s_delay_alu instid0(VALU_DEP_4) | instskip(NEXT) | instid1(VALU_DEP_4)
	v_fma_f32 v71, 0xbf7ba420, v124, -v70
	v_dual_fmac_f32 v70, 0xbf7ba420, v124 :: v_dual_add_f32 v131, v131, v129
	v_add_f32_e32 v129, v41, v59
	s_delay_alu instid0(VALU_DEP_1) | instskip(NEXT) | instid1(VALU_DEP_1)
	v_fmamk_f32 v132, v129, 0xbf1a4643, v186
	v_add_f32_e32 v132, v132, v130
	v_add_f32_e32 v130, v48, v56
	v_fma_f32 v173, 0x3f6eb680, v35, -v175
	v_fmac_f32_e32 v179, 0xbf59a7d5, v124
	s_delay_alu instid0(VALU_DEP_3) | instskip(NEXT) | instid1(VALU_DEP_3)
	v_fma_f32 v135, 0x3ee437d1, v130, -v187
	v_add_f32_e32 v171, v173, v171
	s_delay_alu instid0(VALU_DEP_3) | instskip(NEXT) | instid1(VALU_DEP_3)
	v_add_f32_e32 v167, v179, v167
	v_add_f32_e32 v135, v135, v131
	;; [unrolled: 1-line block ×3, first 2 shown]
	s_delay_alu instid0(VALU_DEP_1) | instskip(SKIP_2) | instid1(VALU_DEP_3)
	v_fmamk_f32 v136, v131, 0x3ee437d1, v188
	v_mul_f32_e32 v222, 0x3f763a35, v163
	v_mul_f32_e32 v254, 0xbf4c4adb, v163
	v_add_f32_e32 v136, v136, v132
	v_add_f32_e32 v132, v49, v54
	v_fma_f32 v173, 0xbf59a7d5, v125, -v181
	v_mul_f32_e32 v181, 0xbf06c442, v164
	s_delay_alu instid0(VALU_DEP_3) | instskip(NEXT) | instid1(VALU_DEP_3)
	v_fma_f32 v139, 0xbe8c1d8e, v132, -v194
	v_add_f32_e32 v171, v173, v171
	v_fma_f32 v173, 0x3f3d2fb0, v127, -v184
	s_delay_alu instid0(VALU_DEP_3) | instskip(SKIP_1) | instid1(VALU_DEP_1)
	v_dual_fmac_f32 v194, 0xbe8c1d8e, v132 :: v_dual_add_f32 v139, v139, v135
	v_add_f32_e32 v135, v45, v55
	v_dual_add_f32 v171, v173, v171 :: v_dual_fmamk_f32 v176, v135, 0xbe8c1d8e, v195
	v_fma_f32 v173, 0xbf1a4643, v129, -v186
	s_delay_alu instid0(VALU_DEP_2) | instskip(SKIP_1) | instid1(VALU_DEP_3)
	v_add_f32_e32 v178, v176, v136
	v_sub_f32_e32 v176, v51, v53
	v_dual_add_f32 v136, v50, v52 :: v_dual_add_f32 v171, v173, v171
	v_dual_add_f32 v167, v183, v167 :: v_dual_mul_f32 v186, 0xbf2c7751, v169
	s_delay_alu instid0(VALU_DEP_3) | instskip(SKIP_2) | instid1(VALU_DEP_4)
	v_mul_f32_e32 v196, 0x3f7ee86f, v176
	v_fmac_f32_e32 v187, 0x3ee437d1, v130
	v_fmamk_f32 v67, v193, 0x3ee437d1, v67
	v_add_f32_e32 v167, v185, v167
	s_delay_alu instid0(VALU_DEP_4) | instskip(NEXT) | instid1(VALU_DEP_3)
	v_fma_f32 v177, 0x3dbcf732, v136, -v196
	v_dual_fmac_f32 v196, 0x3dbcf732, v136 :: v_dual_add_f32 v67, v33, v67
	s_delay_alu instid0(VALU_DEP_3) | instskip(NEXT) | instid1(VALU_DEP_3)
	v_add_f32_e32 v167, v187, v167
	v_add_f32_e32 v177, v177, v139
	;; [unrolled: 1-line block ×3, first 2 shown]
	s_delay_alu instid0(VALU_DEP_1) | instskip(SKIP_3) | instid1(VALU_DEP_4)
	v_fmamk_f32 v198, v139, 0x3dbcf732, v197
	v_fma_f32 v173, 0x3ee437d1, v131, -v188
	v_dual_mul_f32 v188, 0x3f65296c, v160 :: v_dual_add_f32 v167, v194, v167
	v_add_nc_u32_e32 v194, 0x800, v157
	v_add_f32_e32 v178, v198, v178
	s_delay_alu instid0(VALU_DEP_4) | instskip(SKIP_3) | instid1(VALU_DEP_3)
	v_dual_mul_f32 v198, 0xbe3c28d5, v174 :: v_dual_add_f32 v171, v173, v171
	v_fma_f32 v173, 0xbe8c1d8e, v135, -v195
	v_fma_f32 v202, 0x3ee437d1, v34, -v188
	v_dual_fmac_f32 v188, 0x3ee437d1, v34 :: v_dual_add_f32 v183, v196, v167
	v_dual_mul_f32 v196, 0xbf4c4adb, v192 :: v_dual_add_f32 v171, v173, v171
	v_fma_f32 v173, 0x3dbcf732, v139, -v197
	s_delay_alu instid0(VALU_DEP_1)
	v_dual_add_f32 v184, v173, v171 :: v_dual_mul_f32 v171, 0xbf4c4adb, v190
	v_mul_f32_e32 v173, 0x3f763a35, v160
	ds_store_2addr_b64 v194, v[177:178], v[183:184] offset0:16 offset1:50
	v_fma_f32 v195, 0xbf1a4643, v191, -v171
	v_fmac_f32_e32 v171, 0xbf1a4643, v191
	v_fma_f32 v167, 0xbe8c1d8e, v34, -v173
	v_fmac_f32_e32 v173, 0xbe8c1d8e, v34
	v_mul_f32_e32 v178, 0xbeb8f4ab, v162
	s_delay_alu instid0(VALU_DEP_4) | instskip(SKIP_1) | instid1(VALU_DEP_2)
	v_dual_mul_f32 v184, 0x3f7ee86f, v166 :: v_dual_add_f32 v171, v32, v171
	v_add_f32_e32 v195, v32, v195
	v_add_f32_e32 v175, v173, v171
	v_fma_f32 v171, 0xbf1a4643, v193, -v196
	s_delay_alu instid0(VALU_DEP_1) | instskip(SKIP_1) | instid1(VALU_DEP_1)
	v_add_f32_e32 v173, v33, v171
	v_mul_f32_e32 v171, 0x3f763a35, v161
	v_fma_f32 v177, 0xbe8c1d8e, v35, -v171
	s_delay_alu instid0(VALU_DEP_1) | instskip(SKIP_2) | instid1(VALU_DEP_1)
	v_add_f32_e32 v177, v177, v173
	v_fma_f32 v173, 0x3f6eb680, v124, -v178
	v_fmac_f32_e32 v178, 0x3f6eb680, v124
	v_add_f32_e32 v178, v178, v175
	v_mul_f32_e32 v175, 0xbeb8f4ab, v163
	s_delay_alu instid0(VALU_DEP_1) | instskip(NEXT) | instid1(VALU_DEP_1)
	v_fma_f32 v179, 0x3f6eb680, v125, -v175
	v_add_f32_e32 v179, v179, v177
	v_fma_f32 v177, 0xbf59a7d5, v126, -v181
	v_fmac_f32_e32 v181, 0xbf59a7d5, v126
	s_delay_alu instid0(VALU_DEP_1) | instskip(NEXT) | instid1(VALU_DEP_1)
	v_dual_add_f32 v181, v181, v178 :: v_dual_mul_f32 v178, 0xbf06c442, v165
	v_fma_f32 v183, 0xbf59a7d5, v127, -v178
	s_delay_alu instid0(VALU_DEP_1) | instskip(SKIP_2) | instid1(VALU_DEP_1)
	v_add_f32_e32 v183, v183, v179
	v_fma_f32 v179, 0x3dbcf732, v128, -v184
	v_fmac_f32_e32 v184, 0x3dbcf732, v128
	v_dual_add_f32 v184, v184, v181 :: v_dual_mul_f32 v181, 0x3f7ee86f, v168
	s_delay_alu instid0(VALU_DEP_1) | instskip(NEXT) | instid1(VALU_DEP_1)
	v_fma_f32 v185, 0x3dbcf732, v129, -v181
	v_add_f32_e32 v185, v185, v183
	v_fma_f32 v183, 0x3f3d2fb0, v130, -v186
	v_fmac_f32_e32 v186, 0x3f3d2fb0, v130
	s_delay_alu instid0(VALU_DEP_1) | instskip(SKIP_1) | instid1(VALU_DEP_1)
	v_add_f32_e32 v186, v186, v184
	v_mul_f32_e32 v184, 0xbf2c7751, v170
	v_fma_f32 v187, 0x3f3d2fb0, v131, -v184
	s_delay_alu instid0(VALU_DEP_1) | instskip(SKIP_1) | instid1(VALU_DEP_1)
	v_add_f32_e32 v185, v187, v185
	v_mul_f32_e32 v187, 0xbe3c28d5, v172
	v_fma_f32 v197, 0xbf7ba420, v132, -v187
	v_fmac_f32_e32 v187, 0xbf7ba420, v132
	s_delay_alu instid0(VALU_DEP_1) | instskip(SKIP_1) | instid1(VALU_DEP_1)
	v_add_f32_e32 v186, v187, v186
	v_fma_f32 v187, 0xbf7ba420, v135, -v198
	v_add_f32_e32 v187, v187, v185
	v_mul_f32_e32 v185, 0x3f65296c, v176
	s_delay_alu instid0(VALU_DEP_1) | instskip(SKIP_1) | instid1(VALU_DEP_1)
	v_fma_f32 v199, 0x3ee437d1, v136, -v185
	v_fmac_f32_e32 v185, 0x3ee437d1, v136
	v_add_f32_e32 v185, v185, v186
	v_fma_f32 v186, 0x3ee437d1, v139, -v200
	s_delay_alu instid0(VALU_DEP_1) | instskip(NEXT) | instid1(VALU_DEP_1)
	v_dual_add_f32 v186, v186, v187 :: v_dual_mul_f32 v187, 0xbf06c442, v190
	v_fma_f32 v201, 0xbf59a7d5, v191, -v187
	v_fmac_f32_e32 v187, 0xbf59a7d5, v191
	s_delay_alu instid0(VALU_DEP_1) | instskip(NEXT) | instid1(VALU_DEP_1)
	v_add_f32_e32 v187, v32, v187
	v_add_f32_e32 v187, v188, v187
	v_fma_f32 v188, 0xbf59a7d5, v193, -v203
	s_delay_alu instid0(VALU_DEP_1) | instskip(NEXT) | instid1(VALU_DEP_1)
	v_add_f32_e32 v188, v33, v188
	v_dual_add_f32 v188, v205, v188 :: v_dual_mul_f32 v205, 0xbf7ee86f, v162
	s_delay_alu instid0(VALU_DEP_1) | instskip(SKIP_1) | instid1(VALU_DEP_1)
	v_fma_f32 v206, 0x3dbcf732, v124, -v205
	v_fmac_f32_e32 v205, 0x3dbcf732, v124
	v_add_f32_e32 v187, v205, v187
	v_mul_f32_e32 v205, 0xbf7ee86f, v163
	s_delay_alu instid0(VALU_DEP_1) | instskip(NEXT) | instid1(VALU_DEP_1)
	v_fma_f32 v207, 0x3dbcf732, v125, -v205
	v_add_f32_e32 v188, v207, v188
	v_mul_f32_e32 v207, 0x3f4c4adb, v164
	s_delay_alu instid0(VALU_DEP_1) | instskip(SKIP_1) | instid1(VALU_DEP_1)
	v_fma_f32 v208, 0xbf1a4643, v126, -v207
	v_fmac_f32_e32 v207, 0xbf1a4643, v126
	v_add_f32_e32 v187, v207, v187
	v_mul_f32_e32 v207, 0x3f4c4adb, v165
	s_delay_alu instid0(VALU_DEP_1) | instskip(NEXT) | instid1(VALU_DEP_1)
	v_fma_f32 v209, 0xbf1a4643, v127, -v207
	v_dual_add_f32 v188, v209, v188 :: v_dual_mul_f32 v209, 0xbeb8f4ab, v166
	s_delay_alu instid0(VALU_DEP_1) | instskip(SKIP_1) | instid1(VALU_DEP_1)
	v_fma_f32 v210, 0x3f6eb680, v128, -v209
	v_fmac_f32_e32 v209, 0x3f6eb680, v128
	v_add_f32_e32 v187, v209, v187
	v_mul_f32_e32 v209, 0xbeb8f4ab, v168
	s_delay_alu instid0(VALU_DEP_1) | instskip(NEXT) | instid1(VALU_DEP_1)
	v_fma_f32 v211, 0x3f6eb680, v129, -v209
	v_dual_add_f32 v188, v211, v188 :: v_dual_mul_f32 v211, 0xbe3c28d5, v169
	s_delay_alu instid0(VALU_DEP_1) | instskip(SKIP_1) | instid1(VALU_DEP_1)
	v_fma_f32 v212, 0xbf7ba420, v130, -v211
	v_fmac_f32_e32 v211, 0xbf7ba420, v130
	v_add_f32_e32 v187, v211, v187
	v_mul_f32_e32 v211, 0xbe3c28d5, v170
	s_delay_alu instid0(VALU_DEP_1) | instskip(NEXT) | instid1(VALU_DEP_1)
	v_fma_f32 v213, 0xbf7ba420, v131, -v211
	v_add_f32_e32 v188, v213, v188
	v_mul_f32_e32 v213, 0x3f2c7751, v172
	s_delay_alu instid0(VALU_DEP_1) | instskip(SKIP_1) | instid1(VALU_DEP_1)
	v_fma_f32 v214, 0x3f3d2fb0, v132, -v213
	v_fmac_f32_e32 v213, 0x3f3d2fb0, v132
	v_add_f32_e32 v187, v213, v187
	v_mul_f32_e32 v213, 0x3f2c7751, v174
	s_delay_alu instid0(VALU_DEP_1) | instskip(NEXT) | instid1(VALU_DEP_1)
	v_fma_f32 v215, 0x3f3d2fb0, v135, -v213
	v_add_f32_e32 v188, v215, v188
	v_mul_f32_e32 v215, 0xbf763a35, v176
	s_delay_alu instid0(VALU_DEP_1) | instskip(SKIP_1) | instid1(VALU_DEP_1)
	v_fma_f32 v216, 0xbe8c1d8e, v136, -v215
	v_fmac_f32_e32 v215, 0xbe8c1d8e, v136
	v_add_f32_e32 v187, v215, v187
	v_mul_f32_e32 v215, 0xbf763a35, v180
	s_delay_alu instid0(VALU_DEP_1) | instskip(NEXT) | instid1(VALU_DEP_1)
	v_fma_f32 v217, 0xbe8c1d8e, v139, -v215
	v_add_f32_e32 v188, v217, v188
	ds_store_2addr_b64 v194, v[187:188], v[185:186] offset0:84 offset1:118
	v_mul_f32_e32 v185, 0xbf7ee86f, v190
	v_mul_f32_e32 v186, 0xbe3c28d5, v160
	v_fma_f32 v187, 0xbf7ba420, v35, -v220
	v_mul_f32_e32 v188, 0x3f06c442, v160
	s_delay_alu instid0(VALU_DEP_4) | instskip(SKIP_4) | instid1(VALU_DEP_4)
	v_fma_f32 v217, 0x3dbcf732, v191, -v185
	v_fmac_f32_e32 v185, 0x3dbcf732, v191
	v_fma_f32 v218, 0xbf7ba420, v34, -v186
	v_fmac_f32_e32 v186, 0xbf7ba420, v34
	v_fma_f32 v234, 0xbf59a7d5, v34, -v188
	v_dual_fmac_f32 v188, 0xbf59a7d5, v34 :: v_dual_add_f32 v185, v32, v185
	s_delay_alu instid0(VALU_DEP_1) | instskip(SKIP_1) | instid1(VALU_DEP_1)
	v_add_f32_e32 v185, v186, v185
	v_fma_f32 v186, 0x3dbcf732, v193, -v219
	v_add_f32_e32 v186, v33, v186
	s_delay_alu instid0(VALU_DEP_1) | instskip(SKIP_1) | instid1(VALU_DEP_1)
	v_add_f32_e32 v186, v187, v186
	v_mul_f32_e32 v187, 0x3f763a35, v162
	v_fma_f32 v221, 0xbe8c1d8e, v124, -v187
	v_fmac_f32_e32 v187, 0xbe8c1d8e, v124
	s_delay_alu instid0(VALU_DEP_1) | instskip(SKIP_1) | instid1(VALU_DEP_1)
	v_add_f32_e32 v185, v187, v185
	v_fma_f32 v187, 0xbe8c1d8e, v125, -v222
	v_dual_add_f32 v186, v187, v186 :: v_dual_mul_f32 v187, 0x3eb8f4ab, v164
	s_delay_alu instid0(VALU_DEP_1) | instskip(SKIP_1) | instid1(VALU_DEP_1)
	v_fma_f32 v223, 0x3f6eb680, v126, -v187
	v_fmac_f32_e32 v187, 0x3f6eb680, v126
	v_add_f32_e32 v185, v187, v185
	v_fma_f32 v187, 0x3f6eb680, v127, -v224
	s_delay_alu instid0(VALU_DEP_1) | instskip(SKIP_1) | instid1(VALU_DEP_1)
	v_add_f32_e32 v186, v187, v186
	v_mul_f32_e32 v187, 0xbf65296c, v166
	v_fma_f32 v225, 0x3ee437d1, v128, -v187
	v_fmac_f32_e32 v187, 0x3ee437d1, v128
	s_delay_alu instid0(VALU_DEP_1) | instskip(SKIP_1) | instid1(VALU_DEP_1)
	v_add_f32_e32 v185, v187, v185
	v_fma_f32 v187, 0x3ee437d1, v129, -v226
	v_dual_add_f32 v186, v187, v186 :: v_dual_mul_f32 v187, 0xbf06c442, v169
	s_delay_alu instid0(VALU_DEP_1) | instskip(SKIP_1) | instid1(VALU_DEP_1)
	v_fma_f32 v227, 0xbf59a7d5, v130, -v187
	v_fmac_f32_e32 v187, 0xbf59a7d5, v130
	v_add_f32_e32 v185, v187, v185
	v_fma_f32 v187, 0xbf59a7d5, v131, -v228
	s_delay_alu instid0(VALU_DEP_1) | instskip(NEXT) | instid1(VALU_DEP_1)
	v_dual_add_f32 v186, v187, v186 :: v_dual_mul_f32 v187, 0x3f4c4adb, v172
	v_fma_f32 v229, 0xbf1a4643, v132, -v187
	v_fmac_f32_e32 v187, 0xbf1a4643, v132
	s_delay_alu instid0(VALU_DEP_1) | instskip(SKIP_1) | instid1(VALU_DEP_1)
	v_add_f32_e32 v185, v187, v185
	v_fma_f32 v187, 0xbf1a4643, v135, -v230
	v_dual_add_f32 v186, v187, v186 :: v_dual_mul_f32 v187, 0x3f2c7751, v176
	s_delay_alu instid0(VALU_DEP_1) | instskip(SKIP_1) | instid1(VALU_DEP_1)
	v_fma_f32 v231, 0x3f3d2fb0, v136, -v187
	v_fmac_f32_e32 v187, 0x3f3d2fb0, v136
	v_add_f32_e32 v185, v187, v185
	v_fma_f32 v187, 0x3f3d2fb0, v139, -v232
	s_delay_alu instid0(VALU_DEP_1) | instskip(SKIP_1) | instid1(VALU_DEP_1)
	v_add_f32_e32 v186, v187, v186
	v_mul_f32_e32 v187, 0xbf763a35, v190
	v_fma_f32 v233, 0xbe8c1d8e, v191, -v187
	v_fmac_f32_e32 v187, 0xbe8c1d8e, v191
	s_delay_alu instid0(VALU_DEP_1) | instskip(NEXT) | instid1(VALU_DEP_1)
	v_add_f32_e32 v187, v32, v187
	v_add_f32_e32 v187, v188, v187
	v_fma_f32 v188, 0xbe8c1d8e, v193, -v235
	s_delay_alu instid0(VALU_DEP_1) | instskip(NEXT) | instid1(VALU_DEP_1)
	v_add_f32_e32 v188, v33, v188
	v_dual_add_f32 v188, v237, v188 :: v_dual_mul_f32 v237, 0x3f2c7751, v162
	s_delay_alu instid0(VALU_DEP_1) | instskip(SKIP_1) | instid1(VALU_DEP_1)
	v_fma_f32 v238, 0x3f3d2fb0, v124, -v237
	v_fmac_f32_e32 v237, 0x3f3d2fb0, v124
	v_add_f32_e32 v187, v237, v187
	v_mul_f32_e32 v237, 0x3f2c7751, v163
	s_delay_alu instid0(VALU_DEP_1) | instskip(NEXT) | instid1(VALU_DEP_1)
	v_fma_f32 v239, 0x3f3d2fb0, v125, -v237
	v_add_f32_e32 v188, v239, v188
	v_mul_f32_e32 v239, 0xbf65296c, v164
	s_delay_alu instid0(VALU_DEP_1) | instskip(SKIP_1) | instid1(VALU_DEP_1)
	v_fma_f32 v240, 0x3ee437d1, v126, -v239
	v_fmac_f32_e32 v239, 0x3ee437d1, v126
	v_add_f32_e32 v187, v239, v187
	v_mul_f32_e32 v239, 0xbf65296c, v165
	s_delay_alu instid0(VALU_DEP_1) | instskip(NEXT) | instid1(VALU_DEP_1)
	v_fma_f32 v241, 0x3ee437d1, v127, -v239
	v_dual_add_f32 v188, v241, v188 :: v_dual_mul_f32 v241, 0xbe3c28d5, v166
	s_delay_alu instid0(VALU_DEP_1) | instskip(SKIP_1) | instid1(VALU_DEP_1)
	v_fma_f32 v242, 0xbf7ba420, v128, -v241
	v_fmac_f32_e32 v241, 0xbf7ba420, v128
	v_add_f32_e32 v187, v241, v187
	v_mul_f32_e32 v241, 0xbe3c28d5, v168
	s_delay_alu instid0(VALU_DEP_1) | instskip(NEXT) | instid1(VALU_DEP_1)
	v_fma_f32 v243, 0xbf7ba420, v129, -v241
	v_dual_add_f32 v188, v243, v188 :: v_dual_mul_f32 v243, 0x3f7ee86f, v169
	s_delay_alu instid0(VALU_DEP_1) | instskip(SKIP_1) | instid1(VALU_DEP_1)
	v_fma_f32 v244, 0x3dbcf732, v130, -v243
	v_fmac_f32_e32 v243, 0x3dbcf732, v130
	v_add_f32_e32 v187, v243, v187
	v_mul_f32_e32 v243, 0x3f7ee86f, v170
	s_delay_alu instid0(VALU_DEP_1) | instskip(NEXT) | instid1(VALU_DEP_1)
	v_fma_f32 v245, 0x3dbcf732, v131, -v243
	v_add_f32_e32 v188, v245, v188
	v_mul_f32_e32 v245, 0xbeb8f4ab, v172
	s_delay_alu instid0(VALU_DEP_1) | instskip(SKIP_1) | instid1(VALU_DEP_1)
	v_fma_f32 v246, 0x3f6eb680, v132, -v245
	v_fmac_f32_e32 v245, 0x3f6eb680, v132
	v_add_f32_e32 v187, v245, v187
	v_mul_f32_e32 v245, 0xbeb8f4ab, v174
	s_delay_alu instid0(VALU_DEP_1) | instskip(NEXT) | instid1(VALU_DEP_1)
	v_fma_f32 v247, 0x3f6eb680, v135, -v245
	v_add_f32_e32 v188, v247, v188
	v_mul_f32_e32 v247, 0xbf4c4adb, v176
	s_delay_alu instid0(VALU_DEP_1) | instskip(SKIP_1) | instid1(VALU_DEP_1)
	v_fma_f32 v248, 0xbf1a4643, v136, -v247
	v_fmac_f32_e32 v247, 0xbf1a4643, v136
	v_add_f32_e32 v187, v247, v187
	v_mul_f32_e32 v247, 0xbf4c4adb, v180
	s_delay_alu instid0(VALU_DEP_1) | instskip(NEXT) | instid1(VALU_DEP_1)
	v_fma_f32 v249, 0xbf1a4643, v139, -v247
	v_add_f32_e32 v188, v249, v188
	ds_store_2addr_b64 v194, v[187:188], v[185:186] offset0:152 offset1:186
	v_mul_f32_e32 v185, 0xbf2c7751, v190
	v_mul_f32_e32 v186, 0xbf7ee86f, v160
	v_fma_f32 v187, 0x3dbcf732, v35, -v252
	v_mul_f32_e32 v188, 0xbf4c4adb, v160
	s_delay_alu instid0(VALU_DEP_4)
	v_fma_f32 v249, 0x3f3d2fb0, v191, -v185
	v_fmac_f32_e32 v185, 0x3f3d2fb0, v191
	v_fma_f32 v250, 0x3dbcf732, v34, -v186
	v_fmac_f32_e32 v186, 0x3dbcf732, v34
	v_fma_f32 v65, 0xbf1a4643, v34, -v188
	v_add_f32_e32 v192, v32, v249
	v_dual_add_f32 v185, v32, v185 :: v_dual_fmac_f32 v188, 0xbf1a4643, v34
	s_delay_alu instid0(VALU_DEP_1) | instskip(SKIP_1) | instid1(VALU_DEP_1)
	v_add_f32_e32 v185, v186, v185
	v_fma_f32 v186, 0x3f3d2fb0, v193, -v251
	v_add_f32_e32 v186, v33, v186
	s_delay_alu instid0(VALU_DEP_1) | instskip(SKIP_1) | instid1(VALU_DEP_1)
	v_add_f32_e32 v186, v187, v186
	v_mul_f32_e32 v187, 0xbf4c4adb, v162
	v_fma_f32 v253, 0xbf1a4643, v124, -v187
	v_fmac_f32_e32 v187, 0xbf1a4643, v124
	s_delay_alu instid0(VALU_DEP_1) | instskip(SKIP_1) | instid1(VALU_DEP_1)
	v_add_f32_e32 v185, v187, v185
	v_fma_f32 v187, 0xbf1a4643, v125, -v254
	v_dual_add_f32 v186, v187, v186 :: v_dual_mul_f32 v187, 0xbe3c28d5, v164
	s_delay_alu instid0(VALU_DEP_1) | instskip(SKIP_1) | instid1(VALU_DEP_1)
	v_fma_f32 v255, 0xbf7ba420, v126, -v187
	v_fmac_f32_e32 v187, 0xbf7ba420, v126
	v_add_f32_e32 v185, v187, v185
	v_fma_f32 v187, 0xbf7ba420, v127, -v145
	s_delay_alu instid0(VALU_DEP_1) | instskip(SKIP_1) | instid1(VALU_DEP_1)
	v_add_f32_e32 v186, v187, v186
	v_mul_f32_e32 v187, 0x3f06c442, v166
	v_fma_f32 v147, 0xbf59a7d5, v128, -v187
	v_fmac_f32_e32 v187, 0xbf59a7d5, v128
	s_delay_alu instid0(VALU_DEP_1) | instskip(SKIP_1) | instid1(VALU_DEP_1)
	v_add_f32_e32 v185, v187, v185
	v_fma_f32 v187, 0xbf59a7d5, v129, -v148
	v_dual_add_f32 v186, v187, v186 :: v_dual_mul_f32 v187, 0x3f763a35, v169
	s_delay_alu instid0(VALU_DEP_1) | instskip(SKIP_1) | instid1(VALU_DEP_1)
	v_fma_f32 v149, 0xbe8c1d8e, v130, -v187
	v_fmac_f32_e32 v187, 0xbe8c1d8e, v130
	v_add_f32_e32 v185, v187, v185
	v_fma_f32 v187, 0xbe8c1d8e, v131, -v150
	s_delay_alu instid0(VALU_DEP_1) | instskip(NEXT) | instid1(VALU_DEP_1)
	v_dual_add_f32 v186, v187, v186 :: v_dual_mul_f32 v187, 0x3f65296c, v172
	v_fma_f32 v151, 0x3ee437d1, v132, -v187
	v_fmac_f32_e32 v187, 0x3ee437d1, v132
	s_delay_alu instid0(VALU_DEP_1) | instskip(SKIP_1) | instid1(VALU_DEP_1)
	v_add_f32_e32 v185, v187, v185
	v_fma_f32 v187, 0x3ee437d1, v135, -v152
	v_dual_add_f32 v186, v187, v186 :: v_dual_mul_f32 v187, 0x3eb8f4ab, v176
	s_delay_alu instid0(VALU_DEP_1) | instskip(SKIP_1) | instid1(VALU_DEP_1)
	v_fma_f32 v153, 0x3f6eb680, v136, -v187
	v_fmac_f32_e32 v187, 0x3f6eb680, v136
	v_add_f32_e32 v185, v187, v185
	v_fma_f32 v187, 0x3f6eb680, v139, -v154
	s_delay_alu instid0(VALU_DEP_1) | instskip(SKIP_1) | instid1(VALU_DEP_1)
	v_add_f32_e32 v186, v187, v186
	v_mul_f32_e32 v187, 0xbf65296c, v190
	v_fma_f32 v146, 0x3ee437d1, v191, -v187
	s_delay_alu instid0(VALU_DEP_1) | instskip(NEXT) | instid1(VALU_DEP_1)
	v_dual_fmac_f32 v187, 0x3ee437d1, v191 :: v_dual_add_f32 v146, v32, v146
	v_add_f32_e32 v66, v32, v187
	s_delay_alu instid0(VALU_DEP_1) | instskip(NEXT) | instid1(VALU_DEP_1)
	v_add_f32_e32 v66, v188, v66
	v_add_f32_e32 v66, v70, v66
	v_mul_f32_e32 v70, 0x3e3c28d5, v163
	s_delay_alu instid0(VALU_DEP_1) | instskip(NEXT) | instid1(VALU_DEP_1)
	v_fma_f32 v72, 0xbf7ba420, v125, -v70
	v_add_f32_e32 v68, v72, v68
	v_mul_f32_e32 v72, 0x3f763a35, v164
	s_delay_alu instid0(VALU_DEP_1) | instskip(SKIP_1) | instid1(VALU_DEP_1)
	v_fma_f32 v73, 0xbe8c1d8e, v126, -v72
	v_fmac_f32_e32 v72, 0xbe8c1d8e, v126
	v_add_f32_e32 v66, v72, v66
	v_mul_f32_e32 v72, 0x3f763a35, v165
	s_delay_alu instid0(VALU_DEP_1) | instskip(NEXT) | instid1(VALU_DEP_1)
	v_fma_f32 v74, 0xbe8c1d8e, v127, -v72
	v_add_f32_e32 v68, v74, v68
	v_mul_f32_e32 v74, 0x3f2c7751, v166
	s_delay_alu instid0(VALU_DEP_1) | instskip(SKIP_1) | instid1(VALU_DEP_1)
	v_fma_f32 v75, 0x3f3d2fb0, v128, -v74
	v_fmac_f32_e32 v74, 0x3f3d2fb0, v128
	;; [unrolled: 9-line block ×5, first 2 shown]
	v_dual_add_f32 v187, v80, v66 :: v_dual_mul_f32 v66, 0xbf06c442, v180
	s_delay_alu instid0(VALU_DEP_1) | instskip(NEXT) | instid1(VALU_DEP_1)
	v_fma_f32 v80, 0xbf59a7d5, v139, -v66
	v_add_f32_e32 v188, v80, v68
	v_mul_f32_e32 v68, 0xbeb8f4ab, v190
	v_fmamk_f32 v190, v193, 0xbf1a4643, v196
	v_add_f32_e32 v196, v32, v201
	ds_store_2addr_b64 v194, v[187:188], v[185:186] offset0:220 offset1:254
	v_fmamk_f32 v186, v193, 0x3f3d2fb0, v251
	v_fma_f32 v80, 0x3f6eb680, v191, -v68
	v_fmac_f32_e32 v68, 0x3f6eb680, v191
	v_fmamk_f32 v185, v193, 0x3f6eb680, v82
	v_fma_f32 v82, 0x3f6eb680, v193, -v82
	v_fmamk_f32 v187, v193, 0x3dbcf732, v219
	v_fmamk_f32 v191, v193, 0xbf59a7d5, v203
	v_add_f32_e32 v186, v33, v186
	v_fmamk_f32 v188, v193, 0xbe8c1d8e, v235
	v_add_f32_e32 v185, v33, v185
	v_add_f32_e32 v82, v33, v82
	;; [unrolled: 1-line block ×6, first 2 shown]
	v_dual_add_f32 v33, v182, v38 :: v_dual_add_f32 v80, v32, v80
	v_add_f32_e32 v68, v32, v68
	v_add_f32_e32 v193, v32, v217
	s_delay_alu instid0(VALU_DEP_3) | instskip(SKIP_1) | instid1(VALU_DEP_2)
	v_dual_add_f32 v194, v32, v233 :: v_dual_add_f32 v33, v33, v39
	v_add_f32_e32 v32, v189, v43
	v_add_f32_e32 v33, v33, v40
	v_mul_f32_e32 v40, 0xbf2c7751, v160
	s_delay_alu instid0(VALU_DEP_3) | instskip(SKIP_1) | instid1(VALU_DEP_3)
	v_add_f32_e32 v32, v32, v44
	v_add_nc_u32_e32 v160, 0x1c00, v142
	v_fma_f32 v38, 0x3f3d2fb0, v34, -v40
	s_delay_alu instid0(VALU_DEP_3) | instskip(SKIP_1) | instid1(VALU_DEP_3)
	v_add_f32_e32 v32, v32, v46
	v_fmac_f32_e32 v40, 0x3f3d2fb0, v34
	v_dual_add_f32 v38, v38, v80 :: v_dual_add_f32 v33, v33, v41
	s_delay_alu instid0(VALU_DEP_3) | instskip(NEXT) | instid1(VALU_DEP_2)
	v_dual_mul_f32 v41, 0xbf2c7751, v161 :: v_dual_add_f32 v32, v32, v47
	v_dual_add_f32 v34, v40, v68 :: v_dual_add_f32 v33, v33, v42
	v_mul_f32_e32 v42, 0xbf65296c, v162
	s_delay_alu instid0(VALU_DEP_3) | instskip(NEXT) | instid1(VALU_DEP_3)
	v_dual_fmamk_f32 v39, v35, 0x3f3d2fb0, v41 :: v_dual_add_f32 v32, v32, v48
	v_add_f32_e32 v33, v33, v45
	s_delay_alu instid0(VALU_DEP_3) | instskip(NEXT) | instid1(VALU_DEP_3)
	v_fma_f32 v43, 0x3ee437d1, v124, -v42
	v_add_f32_e32 v39, v39, v185
	s_delay_alu instid0(VALU_DEP_4) | instskip(NEXT) | instid1(VALU_DEP_4)
	v_add_f32_e32 v32, v32, v49
	v_dual_fmac_f32 v42, 0x3ee437d1, v124 :: v_dual_add_f32 v33, v33, v51
	s_delay_alu instid0(VALU_DEP_4) | instskip(NEXT) | instid1(VALU_DEP_2)
	v_dual_add_f32 v38, v43, v38 :: v_dual_mul_f32 v43, 0xbf65296c, v163
	v_dual_add_f32 v32, v32, v50 :: v_dual_add_f32 v33, v33, v53
	v_mul_f32_e32 v53, 0xbe3c28d5, v180
	s_delay_alu instid0(VALU_DEP_3) | instskip(NEXT) | instid1(VALU_DEP_3)
	v_fmamk_f32 v44, v125, 0x3ee437d1, v43
	v_dual_add_f32 v32, v32, v52 :: v_dual_add_f32 v33, v33, v55
	s_delay_alu instid0(VALU_DEP_2) | instskip(NEXT) | instid1(VALU_DEP_2)
	v_dual_add_f32 v39, v44, v39 :: v_dual_mul_f32 v44, 0xbf7ee86f, v164
	v_dual_add_f32 v32, v32, v54 :: v_dual_add_f32 v33, v33, v57
	s_delay_alu instid0(VALU_DEP_2) | instskip(NEXT) | instid1(VALU_DEP_2)
	v_fma_f32 v45, 0x3dbcf732, v126, -v44
	v_dual_add_f32 v32, v32, v56 :: v_dual_add_f32 v33, v33, v59
	v_fmac_f32_e32 v44, 0x3dbcf732, v126
	s_delay_alu instid0(VALU_DEP_3) | instskip(NEXT) | instid1(VALU_DEP_3)
	v_dual_add_f32 v38, v45, v38 :: v_dual_mul_f32 v45, 0xbf7ee86f, v165
	v_dual_add_f32 v32, v32, v58 :: v_dual_add_f32 v33, v33, v61
	s_delay_alu instid0(VALU_DEP_2) | instskip(NEXT) | instid1(VALU_DEP_1)
	v_fmamk_f32 v46, v127, 0x3dbcf732, v45
	v_dual_add_f32 v32, v32, v60 :: v_dual_add_f32 v39, v46, v39
	v_mul_f32_e32 v46, 0xbf763a35, v166
	s_delay_alu instid0(VALU_DEP_2) | instskip(NEXT) | instid1(VALU_DEP_2)
	v_add_f32_e32 v32, v32, v62
	v_fma_f32 v47, 0xbe8c1d8e, v128, -v46
	s_delay_alu instid0(VALU_DEP_2) | instskip(SKIP_1) | instid1(VALU_DEP_3)
	v_add_f32_e32 v32, v32, v122
	v_fmac_f32_e32 v46, 0xbe8c1d8e, v128
	v_dual_add_f32 v38, v47, v38 :: v_dual_mul_f32 v47, 0xbf763a35, v168
	s_delay_alu instid0(VALU_DEP_3) | instskip(NEXT) | instid1(VALU_DEP_2)
	v_add_f32_e32 v32, v32, v140
	v_fmamk_f32 v48, v129, 0xbe8c1d8e, v47
	v_add_f32_e32 v33, v33, v63
	s_delay_alu instid0(VALU_DEP_2) | instskip(NEXT) | instid1(VALU_DEP_2)
	v_dual_add_f32 v39, v48, v39 :: v_dual_mul_f32 v48, 0xbf4c4adb, v169
	v_add_f32_e32 v33, v33, v123
	s_delay_alu instid0(VALU_DEP_2) | instskip(NEXT) | instid1(VALU_DEP_2)
	v_fma_f32 v49, 0xbf1a4643, v130, -v48
	v_add_f32_e32 v33, v33, v158
	v_fmac_f32_e32 v48, 0xbf1a4643, v130
	s_delay_alu instid0(VALU_DEP_3) | instskip(SKIP_1) | instid1(VALU_DEP_1)
	v_add_f32_e32 v38, v49, v38
	v_mul_f32_e32 v49, 0xbf4c4adb, v170
	v_fmamk_f32 v50, v131, 0xbf1a4643, v49
	s_delay_alu instid0(VALU_DEP_1) | instskip(NEXT) | instid1(VALU_DEP_1)
	v_dual_add_f32 v39, v50, v39 :: v_dual_mul_f32 v50, 0xbf06c442, v172
	v_fma_f32 v51, 0xbf59a7d5, v132, -v50
	v_fmac_f32_e32 v50, 0xbf59a7d5, v132
	s_delay_alu instid0(VALU_DEP_2) | instskip(SKIP_1) | instid1(VALU_DEP_1)
	v_add_f32_e32 v38, v51, v38
	v_mul_f32_e32 v51, 0xbf06c442, v174
	v_fmamk_f32 v52, v135, 0xbf59a7d5, v51
	s_delay_alu instid0(VALU_DEP_1) | instskip(NEXT) | instid1(VALU_DEP_1)
	v_dual_add_f32 v39, v52, v39 :: v_dual_mul_f32 v52, 0xbe3c28d5, v176
	v_fma_f32 v54, 0xbf7ba420, v136, -v52
	v_fmac_f32_e32 v52, 0xbf7ba420, v136
	v_add_f32_e32 v34, v42, v34
	s_delay_alu instid0(VALU_DEP_3) | instskip(SKIP_1) | instid1(VALU_DEP_1)
	v_add_f32_e32 v38, v54, v38
	v_fmamk_f32 v54, v139, 0xbf7ba420, v53
	v_dual_add_f32 v39, v54, v39 :: v_dual_fmamk_f32 v54, v125, 0xbf7ba420, v70
	ds_store_2addr_b64 v157, v[32:33], v[38:39] offset1:34
	v_dual_add_f32 v32, v250, v192 :: v_dual_fmamk_f32 v33, v35, 0x3dbcf732, v252
	v_fmamk_f32 v38, v125, 0xbf1a4643, v254
	s_delay_alu instid0(VALU_DEP_2) | instskip(NEXT) | instid1(VALU_DEP_1)
	v_add_f32_e32 v32, v253, v32
	v_dual_add_f32 v33, v33, v186 :: v_dual_add_f32 v32, v255, v32
	s_delay_alu instid0(VALU_DEP_1) | instskip(NEXT) | instid1(VALU_DEP_1)
	v_dual_add_f32 v33, v38, v33 :: v_dual_fmamk_f32 v38, v127, 0xbf7ba420, v145
	v_dual_add_f32 v32, v147, v32 :: v_dual_add_f32 v33, v38, v33
	v_fmamk_f32 v38, v129, 0xbf59a7d5, v148
	s_delay_alu instid0(VALU_DEP_2) | instskip(NEXT) | instid1(VALU_DEP_2)
	v_dual_add_f32 v32, v149, v32 :: v_dual_fmamk_f32 v39, v35, 0xbf1a4643, v69
	v_dual_add_f32 v33, v38, v33 :: v_dual_fmamk_f32 v38, v131, 0xbe8c1d8e, v150
	s_delay_alu instid0(VALU_DEP_2) | instskip(NEXT) | instid1(VALU_DEP_1)
	v_add_f32_e32 v32, v151, v32
	v_dual_add_f32 v39, v39, v67 :: v_dual_add_f32 v32, v153, v32
	s_delay_alu instid0(VALU_DEP_1) | instskip(NEXT) | instid1(VALU_DEP_1)
	v_dual_add_f32 v39, v54, v39 :: v_dual_fmamk_f32 v54, v127, 0xbe8c1d8e, v72
	v_dual_add_f32 v39, v54, v39 :: v_dual_fmamk_f32 v54, v129, 0x3f3d2fb0, v74
	s_delay_alu instid0(VALU_DEP_1) | instskip(NEXT) | instid1(VALU_DEP_1)
	v_dual_add_f32 v39, v54, v39 :: v_dual_fmamk_f32 v54, v131, 0x3f6eb680, v76
	v_dual_add_f32 v39, v54, v39 :: v_dual_fmamk_f32 v54, v135, 0x3dbcf732, v78
	s_delay_alu instid0(VALU_DEP_1) | instskip(NEXT) | instid1(VALU_DEP_1)
	v_dual_add_f32 v39, v54, v39 :: v_dual_fmamk_f32 v54, v139, 0xbf59a7d5, v66
	v_dual_add_f32 v39, v54, v39 :: v_dual_fmamk_f32 v54, v125, 0x3f3d2fb0, v237
	v_dual_add_f32 v33, v38, v33 :: v_dual_fmamk_f32 v38, v135, 0x3ee437d1, v152
	s_delay_alu instid0(VALU_DEP_1) | instskip(NEXT) | instid1(VALU_DEP_1)
	v_dual_add_f32 v33, v38, v33 :: v_dual_fmamk_f32 v38, v139, 0x3f6eb680, v154
	v_dual_add_f32 v33, v38, v33 :: v_dual_add_f32 v38, v65, v146
	s_delay_alu instid0(VALU_DEP_1) | instskip(NEXT) | instid1(VALU_DEP_1)
	v_add_f32_e32 v38, v71, v38
	v_add_f32_e32 v38, v73, v38
	s_delay_alu instid0(VALU_DEP_1) | instskip(NEXT) | instid1(VALU_DEP_1)
	v_add_f32_e32 v38, v75, v38
	v_add_f32_e32 v38, v77, v38
	;; [unrolled: 3-line block ×3, first 2 shown]
	ds_store_2addr_b64 v157, v[32:33], v[38:39] offset0:68 offset1:102
	v_fmamk_f32 v33, v35, 0xbf7ba420, v220
	v_fmamk_f32 v38, v125, 0xbe8c1d8e, v222
	v_dual_fmamk_f32 v39, v35, 0xbf59a7d5, v236 :: v_dual_add_f32 v32, v218, v193
	s_delay_alu instid0(VALU_DEP_3) | instskip(NEXT) | instid1(VALU_DEP_2)
	v_add_f32_e32 v33, v33, v187
	v_add_f32_e32 v39, v39, v188
	s_delay_alu instid0(VALU_DEP_2) | instskip(NEXT) | instid1(VALU_DEP_2)
	v_dual_add_f32 v32, v221, v32 :: v_dual_add_f32 v33, v38, v33
	v_dual_fmamk_f32 v38, v127, 0x3f6eb680, v224 :: v_dual_add_f32 v39, v54, v39
	v_fmamk_f32 v54, v127, 0x3ee437d1, v239
	s_delay_alu instid0(VALU_DEP_2) | instskip(NEXT) | instid1(VALU_DEP_2)
	v_dual_add_f32 v32, v223, v32 :: v_dual_add_f32 v33, v38, v33
	v_dual_fmamk_f32 v38, v129, 0x3ee437d1, v226 :: v_dual_add_f32 v39, v54, v39
	v_fmamk_f32 v54, v129, 0xbf7ba420, v241
	;; [unrolled: 4-line block ×5, first 2 shown]
	s_delay_alu instid0(VALU_DEP_2) | instskip(SKIP_1) | instid1(VALU_DEP_3)
	v_dual_add_f32 v32, v231, v32 :: v_dual_add_f32 v33, v38, v33
	v_add_f32_e32 v38, v234, v194
	v_dual_add_f32 v39, v54, v39 :: v_dual_fmamk_f32 v54, v125, 0x3dbcf732, v205
	s_delay_alu instid0(VALU_DEP_2) | instskip(NEXT) | instid1(VALU_DEP_1)
	v_add_f32_e32 v38, v238, v38
	v_add_f32_e32 v38, v240, v38
	s_delay_alu instid0(VALU_DEP_1) | instskip(NEXT) | instid1(VALU_DEP_1)
	v_add_f32_e32 v38, v242, v38
	v_add_f32_e32 v38, v244, v38
	s_delay_alu instid0(VALU_DEP_1) | instskip(NEXT) | instid1(VALU_DEP_1)
	v_add_f32_e32 v38, v246, v38
	v_add_f32_e32 v38, v248, v38
	ds_store_2addr_b64 v157, v[32:33], v[38:39] offset0:136 offset1:170
	v_fmamk_f32 v39, v35, 0x3ee437d1, v204
	v_fmamk_f32 v33, v35, 0xbe8c1d8e, v171
	;; [unrolled: 1-line block ×3, first 2 shown]
	v_add_f32_e32 v32, v167, v195
	s_delay_alu instid0(VALU_DEP_4) | instskip(NEXT) | instid1(VALU_DEP_4)
	v_add_f32_e32 v39, v39, v191
	v_add_f32_e32 v33, v33, v190
	s_delay_alu instid0(VALU_DEP_2) | instskip(SKIP_1) | instid1(VALU_DEP_1)
	v_dual_add_f32 v32, v173, v32 :: v_dual_add_f32 v39, v54, v39
	v_fmamk_f32 v54, v127, 0xbf1a4643, v207
	v_dual_add_f32 v32, v177, v32 :: v_dual_add_f32 v39, v54, v39
	v_fmamk_f32 v54, v129, 0x3f6eb680, v209
	s_delay_alu instid0(VALU_DEP_1) | instskip(SKIP_2) | instid1(VALU_DEP_2)
	v_dual_add_f32 v32, v179, v32 :: v_dual_add_f32 v39, v54, v39
	v_dual_fmamk_f32 v54, v131, 0xbf7ba420, v211 :: v_dual_add_f32 v33, v38, v33
	v_fmamk_f32 v38, v127, 0xbf59a7d5, v178
	v_dual_add_f32 v32, v183, v32 :: v_dual_add_f32 v39, v54, v39
	s_delay_alu instid0(VALU_DEP_2) | instskip(SKIP_1) | instid1(VALU_DEP_2)
	v_dual_fmamk_f32 v54, v135, 0x3f3d2fb0, v213 :: v_dual_add_f32 v33, v38, v33
	v_fmamk_f32 v38, v129, 0x3dbcf732, v181
	v_dual_add_f32 v32, v197, v32 :: v_dual_add_f32 v39, v54, v39
	s_delay_alu instid0(VALU_DEP_2) | instskip(SKIP_1) | instid1(VALU_DEP_2)
	v_dual_fmamk_f32 v54, v139, 0xbe8c1d8e, v215 :: v_dual_add_f32 v33, v38, v33
	v_fmamk_f32 v38, v131, 0x3f3d2fb0, v184
	v_dual_add_f32 v32, v199, v32 :: v_dual_add_f32 v39, v54, v39
	s_delay_alu instid0(VALU_DEP_2) | instskip(NEXT) | instid1(VALU_DEP_1)
	v_dual_add_f32 v33, v38, v33 :: v_dual_fmamk_f32 v38, v135, 0xbf7ba420, v198
	v_dual_add_f32 v33, v38, v33 :: v_dual_fmamk_f32 v38, v139, 0x3ee437d1, v200
	s_delay_alu instid0(VALU_DEP_1) | instskip(SKIP_1) | instid1(VALU_DEP_1)
	v_add_f32_e32 v33, v38, v33
	v_add_f32_e32 v38, v202, v196
	;; [unrolled: 1-line block ×3, first 2 shown]
	s_delay_alu instid0(VALU_DEP_1) | instskip(NEXT) | instid1(VALU_DEP_1)
	v_add_f32_e32 v38, v208, v38
	v_add_f32_e32 v38, v210, v38
	s_delay_alu instid0(VALU_DEP_1) | instskip(NEXT) | instid1(VALU_DEP_1)
	v_add_f32_e32 v38, v212, v38
	v_add_f32_e32 v38, v214, v38
	s_delay_alu instid0(VALU_DEP_1) | instskip(SKIP_4) | instid1(VALU_DEP_3)
	v_add_f32_e32 v38, v216, v38
	ds_store_2addr_b64 v157, v[32:33], v[38:39] offset0:204 offset1:238
	v_fma_f32 v32, 0x3f3d2fb0, v35, -v41
	v_fma_f32 v33, 0x3ee437d1, v125, -v43
	;; [unrolled: 1-line block ×3, first 2 shown]
	v_add_f32_e32 v32, v32, v82
	s_delay_alu instid0(VALU_DEP_1) | instskip(NEXT) | instid1(VALU_DEP_1)
	v_add_f32_e32 v32, v33, v32
	v_dual_add_f32 v32, v35, v32 :: v_dual_add_f32 v33, v44, v34
	v_fma_f32 v34, 0xbe8c1d8e, v129, -v47
	s_delay_alu instid0(VALU_DEP_1) | instskip(NEXT) | instid1(VALU_DEP_3)
	v_add_f32_e32 v32, v34, v32
	v_add_f32_e32 v33, v46, v33
	v_fma_f32 v34, 0xbf1a4643, v131, -v49
	s_delay_alu instid0(VALU_DEP_1) | instskip(SKIP_1) | instid1(VALU_DEP_2)
	v_dual_add_f32 v33, v48, v33 :: v_dual_add_f32 v32, v34, v32
	v_fma_f32 v34, 0xbf59a7d5, v135, -v51
	v_add_f32_e32 v33, v50, v33
	s_delay_alu instid0(VALU_DEP_2) | instskip(SKIP_1) | instid1(VALU_DEP_1)
	v_add_f32_e32 v32, v34, v32
	v_fma_f32 v34, 0xbf7ba420, v139, -v53
	v_dual_add_f32 v139, v52, v33 :: v_dual_add_f32 v140, v34, v32
	v_add_nc_u32_e32 v32, 0x1400, v142
	ds_store_b64 v157, v[139:140] offset:4352
	s_waitcnt lgkmcnt(0)
	s_barrier
	buffer_gl0_inv
	ds_load_2addr_b64 v[60:63], v36 offset0:66 offset1:134
	ds_load_2addr_b64 v[56:59], v32 offset0:74 offset1:142
	;; [unrolled: 1-line block ×3, first 2 shown]
	ds_load_2addr_b64 v[44:47], v142 offset1:68
	ds_load_2addr_b64 v[40:43], v142 offset0:136 offset1:204
	ds_load_2addr_b64 v[36:39], v159 offset0:16 offset1:84
	;; [unrolled: 1-line block ×4, first 2 shown]
	s_and_saveexec_b32 s0, vcc_lo
	s_cbranch_execz .LBB0_7
; %bb.6:
	ds_load_b64 v[139:140], v142 offset:4352
	ds_load_b64 v[137:138], v142 offset:8976
	v_dual_mov_b32 v134, v120 :: v_dual_mov_b32 v133, v119
.LBB0_7:
	s_or_b32 exec_lo, exec_lo, s0
	v_add_co_u32 v65, s0, s10, v121
	s_delay_alu instid0(VALU_DEP_1) | instskip(SKIP_1) | instid1(VALU_DEP_3)
	v_add_co_ci_u32_e64 v66, null, s11, 0, s0
	v_lshl_add_u32 v158, v141, 3, v143
	v_add_co_u32 v119, s0, 0x1000, v65
	s_delay_alu instid0(VALU_DEP_1) | instskip(SKIP_1) | instid1(VALU_DEP_1)
	v_add_co_ci_u32_e64 v120, s0, 0, v66, s0
	v_add_co_u32 v161, s0, 0x2000, v65
	v_add_co_ci_u32_e64 v162, s0, 0, v66, s0
	s_clause 0x6
	global_load_b64 v[127:128], v[119:120], off offset:392
	global_load_b64 v[125:126], v[119:120], off offset:936
	;; [unrolled: 1-line block ×7, first 2 shown]
	v_lshlrev_b64 v[119:120], 3, v[133:134]
	global_load_b64 v[133:134], v[161:162], off offset:104
	v_add_co_u32 v65, s0, s10, v119
	s_delay_alu instid0(VALU_DEP_1) | instskip(NEXT) | instid1(VALU_DEP_2)
	v_add_co_ci_u32_e64 v66, s0, s11, v120, s0
	v_add_co_u32 v119, s0, 0x1000, v65
	s_delay_alu instid0(VALU_DEP_1)
	v_add_co_ci_u32_e64 v120, s0, 0, v66, s0
	global_load_b64 v[119:120], v[119:120], off offset:392
	s_waitcnt vmcnt(7) lgkmcnt(7)
	v_dual_mul_f32 v65, v61, v128 :: v_dual_mul_f32 v68, v62, v126
	v_dual_mul_f32 v66, v60, v128 :: v_dual_mul_f32 v67, v63, v126
	s_waitcnt vmcnt(4) lgkmcnt(5)
	v_dual_mul_f32 v69, v57, v130 :: v_dual_mul_f32 v74, v48, v124
	v_dual_mul_f32 v70, v56, v130 :: v_dual_mul_f32 v73, v49, v124
	s_waitcnt vmcnt(3)
	v_dual_mul_f32 v71, v59, v122 :: v_dual_mul_f32 v76, v50, v136
	v_dual_mul_f32 v72, v58, v122 :: v_dual_mul_f32 v75, v51, v136
	s_waitcnt vmcnt(1) lgkmcnt(0)
	v_dual_mul_f32 v77, v53, v132 :: v_dual_mul_f32 v80, v54, v134
	v_dual_mul_f32 v78, v52, v132 :: v_dual_mul_f32 v79, v55, v134
	v_fma_f32 v60, v60, v127, -v65
	v_fmac_f32_e32 v66, v61, v127
	v_fma_f32 v61, v62, v125, -v67
	v_fmac_f32_e32 v68, v63, v125
	v_fma_f32 v56, v56, v129, -v69
	v_fma_f32 v62, v52, v131, -v77
	;; [unrolled: 1-line block ×3, first 2 shown]
	s_waitcnt vmcnt(0)
	v_mul_f32_e32 v67, v137, v120
	v_fmac_f32_e32 v70, v57, v129
	v_fma_f32 v57, v58, v121, -v71
	v_fma_f32 v58, v48, v123, -v73
	v_dual_fmac_f32 v76, v51, v135 :: v_dual_mul_f32 v65, v138, v120
	v_fmac_f32_e32 v72, v59, v121
	v_fmac_f32_e32 v74, v49, v123
	v_fma_f32 v59, v50, v135, -v75
	v_fmac_f32_e32 v78, v53, v131
	v_dual_fmac_f32 v80, v55, v133 :: v_dual_sub_f32 v49, v45, v66
	v_sub_f32_e32 v51, v47, v68
	v_dual_sub_f32 v52, v40, v56 :: v_dual_fmac_f32 v67, v138, v119
	v_dual_sub_f32 v53, v41, v70 :: v_dual_sub_f32 v54, v42, v57
	v_sub_f32_e32 v55, v43, v72
	v_dual_sub_f32 v57, v37, v74 :: v_dual_sub_f32 v50, v46, v61
	v_fma_f32 v65, v137, v119, -v65
	v_sub_f32_e32 v56, v36, v58
	v_dual_sub_f32 v58, v38, v59 :: v_dual_sub_f32 v59, v39, v76
	v_dual_sub_f32 v48, v44, v60 :: v_dual_sub_f32 v61, v33, v78
	v_sub_f32_e32 v60, v32, v62
	v_dual_sub_f32 v62, v34, v63 :: v_dual_sub_f32 v63, v35, v80
	s_delay_alu instid0(VALU_DEP_3)
	v_fma_f32 v44, v44, 2.0, -v48
	v_fma_f32 v45, v45, 2.0, -v49
	;; [unrolled: 1-line block ×4, first 2 shown]
	v_dual_sub_f32 v137, v139, v65 :: v_dual_sub_f32 v138, v140, v67
	v_fma_f32 v40, v40, 2.0, -v52
	v_fma_f32 v41, v41, 2.0, -v53
	;; [unrolled: 1-line block ×12, first 2 shown]
	ds_store_b64 v158, v[48:49] offset:4624
	ds_store_2addr_b64 v142, v[44:45], v[46:47] offset1:68
	ds_store_b64 v158, v[50:51] offset:5168
	ds_store_b64 v142, v[40:41] offset:1088
	;; [unrolled: 1-line block ×9, first 2 shown]
	ds_store_2addr_b64 v159, v[32:33], v[34:35] offset0:152 offset1:220
	ds_store_2addr_b64 v160, v[60:61], v[62:63] offset0:90 offset1:158
	s_and_saveexec_b32 s0, vcc_lo
	s_cbranch_execz .LBB0_9
; %bb.8:
	v_fma_f32 v33, v140, 2.0, -v138
	v_fma_f32 v32, v139, 2.0, -v137
	ds_store_b64 v142, v[32:33] offset:4352
	ds_store_b64 v158, v[137:138] offset:8976
.LBB0_9:
	s_or_b32 exec_lo, exec_lo, s0
	s_waitcnt lgkmcnt(0)
	s_barrier
	buffer_gl0_inv
	global_load_b64 v[36:37], v[117:118], off offset:1056
	v_add_co_u32 v32, s0, 0x2420, v155
	s_delay_alu instid0(VALU_DEP_1)
	v_add_co_ci_u32_e64 v33, s0, 0, v156, s0
	s_clause 0x6
	global_load_b64 v[38:39], v[32:33], off offset:544
	global_load_b64 v[40:41], v[32:33], off offset:1088
	;; [unrolled: 1-line block ×7, first 2 shown]
	v_add_co_u32 v32, s0, 0x3000, v155
	s_delay_alu instid0(VALU_DEP_1)
	v_add_co_ci_u32_e64 v33, s0, 0, v156, s0
	s_clause 0x5
	global_load_b64 v[53:54], v[32:33], off offset:1312
	global_load_b64 v[55:56], v[32:33], off offset:1856
	;; [unrolled: 1-line block ×6, first 2 shown]
	v_add_co_u32 v139, s0, 0x4000, v155
	s_delay_alu instid0(VALU_DEP_1)
	v_add_co_ci_u32_e64 v140, s0, 0, v156, s0
	s_clause 0x1
	global_load_b64 v[155:156], v[139:140], off offset:480
	global_load_b64 v[159:160], v[139:140], off offset:1024
	ds_load_2addr_b64 v[32:35], v142 offset1:68
	s_waitcnt vmcnt(15) lgkmcnt(0)
	v_mul_f32_e32 v48, v33, v37
	s_waitcnt vmcnt(14)
	v_dual_mul_f32 v162, v32, v37 :: v_dual_mul_f32 v37, v34, v39
	s_delay_alu instid0(VALU_DEP_2) | instskip(SKIP_1) | instid1(VALU_DEP_3)
	v_fma_f32 v161, v32, v36, -v48
	v_mul_f32_e32 v32, v35, v39
	v_dual_fmac_f32 v37, v35, v38 :: v_dual_fmac_f32 v162, v33, v36
	v_add_nc_u32_e32 v48, 0x800, v142
	s_delay_alu instid0(VALU_DEP_3)
	v_fma_f32 v36, v34, v38, -v32
	ds_load_2addr_b64 v[32:35], v142 offset0:136 offset1:204
	s_waitcnt vmcnt(13) lgkmcnt(0)
	v_mul_f32_e32 v39, v32, v41
	s_waitcnt vmcnt(12)
	v_dual_mul_f32 v38, v33, v41 :: v_dual_mul_f32 v63, v35, v43
	v_mul_f32_e32 v41, v34, v43
	s_delay_alu instid0(VALU_DEP_3) | instskip(NEXT) | instid1(VALU_DEP_3)
	v_fmac_f32_e32 v39, v33, v40
	v_fma_f32 v38, v32, v40, -v38
	s_delay_alu instid0(VALU_DEP_4) | instskip(NEXT) | instid1(VALU_DEP_4)
	v_fma_f32 v40, v34, v42, -v63
	v_fmac_f32_e32 v41, v35, v42
	ds_load_2addr_b64 v[32:35], v48 offset0:16 offset1:84
	s_waitcnt vmcnt(11) lgkmcnt(0)
	v_mul_f32_e32 v42, v33, v45
	v_mul_f32_e32 v43, v32, v45
	s_waitcnt vmcnt(10)
	v_mul_f32_e32 v45, v34, v47
	s_delay_alu instid0(VALU_DEP_3) | instskip(NEXT) | instid1(VALU_DEP_3)
	v_fma_f32 v42, v32, v44, -v42
	v_dual_mul_f32 v32, v35, v47 :: v_dual_fmac_f32 v43, v33, v44
	s_delay_alu instid0(VALU_DEP_3) | instskip(NEXT) | instid1(VALU_DEP_2)
	v_fmac_f32_e32 v45, v35, v46
	v_fma_f32 v44, v34, v46, -v32
	ds_load_2addr_b64 v[32:35], v48 offset0:152 offset1:220
	s_waitcnt vmcnt(8) lgkmcnt(0)
	v_mul_f32_e32 v164, v34, v52
	v_mul_f32_e32 v46, v33, v50
	s_delay_alu instid0(VALU_DEP_2) | instskip(NEXT) | instid1(VALU_DEP_2)
	v_dual_mul_f32 v47, v32, v50 :: v_dual_fmac_f32 v164, v35, v51
	v_fma_f32 v46, v32, v49, -v46
	s_delay_alu instid0(VALU_DEP_2) | instskip(SKIP_1) | instid1(VALU_DEP_2)
	v_dual_mul_f32 v32, v35, v52 :: v_dual_fmac_f32 v47, v33, v49
	v_add_nc_u32_e32 v49, 0x1000, v142
	v_fma_f32 v163, v34, v51, -v32
	ds_load_2addr_b64 v[32:35], v49 offset0:32 offset1:100
	s_waitcnt vmcnt(7) lgkmcnt(0)
	v_mul_f32_e32 v50, v33, v54
	v_mul_f32_e32 v52, v32, v54
	s_waitcnt vmcnt(6)
	v_mul_f32_e32 v54, v34, v56
	s_delay_alu instid0(VALU_DEP_3) | instskip(SKIP_2) | instid1(VALU_DEP_4)
	v_fma_f32 v51, v32, v53, -v50
	v_mul_f32_e32 v32, v35, v56
	v_fmac_f32_e32 v52, v33, v53
	v_fmac_f32_e32 v54, v35, v55
	s_delay_alu instid0(VALU_DEP_3)
	v_fma_f32 v53, v34, v55, -v32
	ds_load_2addr_b64 v[32:35], v49 offset0:168 offset1:236
	s_waitcnt vmcnt(5) lgkmcnt(0)
	v_mul_f32_e32 v50, v33, v58
	v_mul_f32_e32 v56, v32, v58
	s_waitcnt vmcnt(4)
	v_mul_f32_e32 v58, v34, v60
	s_delay_alu instid0(VALU_DEP_3) | instskip(SKIP_4) | instid1(VALU_DEP_4)
	v_fma_f32 v55, v32, v57, -v50
	v_mul_f32_e32 v32, v35, v60
	v_add_nc_u32_e32 v50, 0x1800, v142
	v_fmac_f32_e32 v56, v33, v57
	v_fmac_f32_e32 v58, v35, v59
	v_fma_f32 v57, v34, v59, -v32
	ds_load_2addr_b64 v[32:35], v50 offset0:48 offset1:116
	s_waitcnt vmcnt(3) lgkmcnt(0)
	v_mul_f32_e32 v59, v33, v62
	v_mul_f32_e32 v60, v32, v62
	s_waitcnt vmcnt(2)
	v_mul_f32_e32 v62, v34, v118
	s_delay_alu instid0(VALU_DEP_3) | instskip(SKIP_2) | instid1(VALU_DEP_4)
	v_fma_f32 v59, v32, v61, -v59
	v_mul_f32_e32 v32, v35, v118
	v_fmac_f32_e32 v60, v33, v61
	v_fmac_f32_e32 v62, v35, v117
	s_delay_alu instid0(VALU_DEP_3) | instskip(SKIP_4) | instid1(VALU_DEP_2)
	v_fma_f32 v61, v34, v117, -v32
	ds_load_2addr_b64 v[32:35], v50 offset0:184 offset1:252
	s_waitcnt vmcnt(1) lgkmcnt(0)
	v_mul_f32_e32 v63, v33, v156
	v_mul_f32_e32 v118, v32, v156
	v_fma_f32 v117, v32, v155, -v63
	s_delay_alu instid0(VALU_DEP_2) | instskip(SKIP_3) | instid1(VALU_DEP_2)
	v_fmac_f32_e32 v118, v33, v155
	s_waitcnt vmcnt(0)
	v_mul_f32_e32 v32, v35, v160
	v_mul_f32_e32 v33, v34, v160
	v_fma_f32 v32, v34, v159, -v32
	s_delay_alu instid0(VALU_DEP_2)
	v_fmac_f32_e32 v33, v35, v159
	global_load_b64 v[34:35], v[139:140], off offset:1568
	ds_load_b64 v[139:140], v142 offset:8704
	s_waitcnt vmcnt(0) lgkmcnt(0)
	v_mul_f32_e32 v63, v140, v35
	v_mul_f32_e32 v156, v139, v35
	s_delay_alu instid0(VALU_DEP_2) | instskip(NEXT) | instid1(VALU_DEP_2)
	v_fma_f32 v155, v139, v34, -v63
	v_fmac_f32_e32 v156, v140, v34
	ds_store_2addr_b64 v142, v[161:162], v[36:37] offset1:68
	ds_store_2addr_b64 v142, v[38:39], v[40:41] offset0:136 offset1:204
	ds_store_2addr_b64 v48, v[42:43], v[44:45] offset0:16 offset1:84
	;; [unrolled: 1-line block ×7, first 2 shown]
	ds_store_b64 v142, v[155:156] offset:8704
	s_waitcnt lgkmcnt(0)
	s_barrier
	buffer_gl0_inv
	ds_load_2addr_b64 v[32:35], v142 offset1:68
	ds_load_b64 v[44:45], v142 offset:8704
	ds_load_2addr_b64 v[176:179], v49 offset0:168 offset1:236
	ds_load_2addr_b64 v[190:193], v49 offset0:32 offset1:100
	s_waitcnt lgkmcnt(2)
	v_add_f32_e32 v37, v45, v35
	v_sub_f32_e32 v39, v34, v44
	s_delay_alu instid0(VALU_DEP_2) | instskip(SKIP_4) | instid1(VALU_DEP_4)
	v_mul_f32_e32 v43, 0x3f3d2fb0, v37
	v_sub_f32_e32 v36, v35, v45
	v_dual_add_f32 v38, v44, v34 :: v_dual_mul_f32 v47, 0x3ee437d1, v37
	v_mul_f32_e32 v65, 0xbf59a7d5, v37
	v_mul_f32_e32 v41, 0x3f6eb680, v37
	;; [unrolled: 1-line block ×3, first 2 shown]
	s_delay_alu instid0(VALU_DEP_4) | instskip(SKIP_1) | instid1(VALU_DEP_3)
	v_fmamk_f32 v63, v39, 0x3f65296c, v47
	v_fmac_f32_e32 v47, 0xbf65296c, v39
	v_fmamk_f32 v67, v38, 0xbf59a7d5, v57
	v_fma_f32 v68, 0xbf59a7d5, v38, -v57
	v_fmamk_f32 v57, v39, 0x3f2c7751, v43
	v_fmac_f32_e32 v43, 0xbf2c7751, v39
	v_mul_f32_e32 v46, 0xbf65296c, v36
	v_mul_f32_e32 v51, 0xbf7ee86f, v36
	;; [unrolled: 1-line block ×5, first 2 shown]
	v_dual_mul_f32 v54, 0xbe8c1d8e, v37 :: v_dual_add_f32 v165, v33, v43
	v_fmamk_f32 v61, v38, 0x3dbcf732, v51
	v_fmamk_f32 v60, v38, 0x3ee437d1, v46
	v_fma_f32 v46, 0x3ee437d1, v38, -v46
	v_fmamk_f32 v58, v38, 0x3f6eb680, v40
	v_fma_f32 v40, 0x3f6eb680, v38, -v40
	v_fma_f32 v51, 0x3dbcf732, v38, -v51
	s_delay_alu instid0(VALU_DEP_4) | instskip(NEXT) | instid1(VALU_DEP_4)
	v_dual_fmamk_f32 v62, v38, 0xbe8c1d8e, v53 :: v_dual_add_f32 v161, v32, v46
	v_dual_mul_f32 v42, 0xbf2c7751, v36 :: v_dual_add_f32 v185, v32, v58
	s_delay_alu instid0(VALU_DEP_4) | instskip(SKIP_1) | instid1(VALU_DEP_3)
	v_add_f32_e32 v118, v32, v40
	v_dual_mul_f32 v56, 0xbf1a4643, v37 :: v_dual_add_f32 v163, v33, v63
	v_fmamk_f32 v59, v38, 0x3f3d2fb0, v42
	v_fma_f32 v42, 0x3f3d2fb0, v38, -v42
	v_mul_f32_e32 v52, 0x3dbcf732, v37
	v_mul_f32_e32 v37, 0xbf7ba420, v37
	v_mul_f32_e32 v36, 0xbe3c28d5, v36
	s_delay_alu instid0(VALU_DEP_4)
	v_dual_fmamk_f32 v73, v39, 0x3f06c442, v65 :: v_dual_add_f32 v166, v32, v42
	v_dual_fmamk_f32 v72, v39, 0x3f4c4adb, v56 :: v_dual_add_f32 v159, v32, v61
	v_dual_fmac_f32 v65, 0xbf06c442, v39 :: v_dual_add_f32 v164, v32, v60
	v_fmac_f32_e32 v56, 0xbf4c4adb, v39
	v_dual_add_f32 v155, v32, v51 :: v_dual_fmamk_f32 v66, v38, 0xbf1a4643, v55
	v_add_f32_e32 v139, v32, v62
	v_fma_f32 v55, 0xbf1a4643, v38, -v55
	v_fma_f32 v53, 0xbe8c1d8e, v38, -v53
	v_dual_fmamk_f32 v71, v39, 0x3f763a35, v54 :: v_dual_add_f32 v168, v33, v57
	v_fmamk_f32 v74, v39, 0x3e3c28d5, v37
	v_fmac_f32_e32 v37, 0xbe3c28d5, v39
	v_fmamk_f32 v69, v38, 0xbf7ba420, v36
	v_fma_f32 v36, 0xbf7ba420, v38, -v36
	v_dual_fmamk_f32 v38, v39, 0x3eb8f4ab, v41 :: v_dual_add_f32 v63, v33, v71
	v_fmac_f32_e32 v41, 0xbeb8f4ab, v39
	v_add_f32_e32 v169, v32, v59
	v_add_f32_e32 v160, v33, v47
	v_dual_add_f32 v58, v32, v55 :: v_dual_add_f32 v55, v33, v73
	v_dual_add_f32 v47, v33, v65 :: v_dual_fmac_f32 v54, 0xbf763a35, v39
	v_dual_add_f32 v57, v33, v56 :: v_dual_fmamk_f32 v70, v39, 0x3f7ee86f, v52
	v_dual_fmac_f32 v52, 0xbf7ee86f, v39 :: v_dual_add_f32 v59, v33, v72
	v_add_f32_e32 v39, v32, v34
	v_add_f32_e32 v184, v33, v38
	;; [unrolled: 1-line block ×3, first 2 shown]
	s_delay_alu instid0(VALU_DEP_4)
	v_add_f32_e32 v140, v33, v52
	v_add_f32_e32 v61, v33, v54
	v_add_f32_e32 v156, v33, v70
	v_add_f32_e32 v60, v32, v66
	v_add_f32_e32 v56, v32, v67
	v_add_f32_e32 v46, v32, v68
	v_add_f32_e32 v54, v32, v69
	v_dual_add_f32 v52, v32, v36 :: v_dual_add_f32 v51, v33, v37
	v_dual_add_f32 v62, v32, v53 :: v_dual_add_f32 v53, v33, v74
	v_add_f32_e32 v36, v33, v35
	ds_load_2addr_b64 v[32:35], v142 offset0:136 offset1:204
	ds_load_2addr_b64 v[180:183], v50 offset0:48 offset1:116
	;; [unrolled: 1-line block ×3, first 2 shown]
	s_waitcnt lgkmcnt(2)
	v_dual_add_f32 v37, v39, v32 :: v_dual_add_f32 v36, v36, v33
	s_waitcnt lgkmcnt(0)
	v_sub_f32_e32 v173, v34, v186
	s_delay_alu instid0(VALU_DEP_2) | instskip(SKIP_4) | instid1(VALU_DEP_2)
	v_dual_add_f32 v40, v37, v34 :: v_dual_add_f32 v41, v36, v35
	ds_load_2addr_b64 v[36:39], v48 offset0:16 offset1:84
	s_waitcnt lgkmcnt(0)
	v_dual_add_f32 v40, v40, v36 :: v_dual_add_f32 v41, v41, v37
	v_sub_f32_e32 v171, v36, v182
	v_dual_add_f32 v65, v40, v38 :: v_dual_add_f32 v66, v41, v39
	ds_load_2addr_b64 v[40:43], v48 offset0:152 offset1:220
	s_waitcnt lgkmcnt(0)
	s_barrier
	buffer_gl0_inv
	v_dual_add_f32 v65, v65, v40 :: v_dual_add_f32 v66, v66, v41
	v_dual_sub_f32 v174, v43, v177 :: v_dual_add_f32 v175, v177, v43
	s_delay_alu instid0(VALU_DEP_2) | instskip(NEXT) | instid1(VALU_DEP_3)
	v_dual_add_f32 v162, v178, v40 :: v_dual_add_f32 v65, v65, v42
	v_add_f32_e32 v66, v66, v43
	v_sub_f32_e32 v40, v40, v178
	v_add_f32_e32 v170, v176, v42
	s_delay_alu instid0(VALU_DEP_4) | instskip(NEXT) | instid1(VALU_DEP_4)
	v_dual_sub_f32 v42, v42, v176 :: v_dual_add_f32 v43, v65, v190
	v_add_f32_e32 v65, v66, v191
	v_sub_f32_e32 v167, v41, v179
	v_add_f32_e32 v41, v179, v41
	s_delay_alu instid0(VALU_DEP_4) | instskip(NEXT) | instid1(VALU_DEP_4)
	v_add_f32_e32 v43, v43, v192
	v_add_f32_e32 v65, v65, v193
	s_delay_alu instid0(VALU_DEP_2) | instskip(NEXT) | instid1(VALU_DEP_2)
	v_add_f32_e32 v43, v43, v176
	v_add_f32_e32 v65, v65, v177
	v_dual_add_f32 v176, v181, v39 :: v_dual_add_f32 v177, v183, v37
	s_delay_alu instid0(VALU_DEP_2) | instskip(SKIP_2) | instid1(VALU_DEP_3)
	v_dual_add_f32 v65, v65, v179 :: v_dual_add_f32 v66, v43, v178
	v_dual_sub_f32 v178, v39, v181 :: v_dual_add_f32 v43, v182, v36
	v_sub_f32_e32 v179, v37, v183
	v_add_f32_e32 v39, v65, v181
	v_dual_add_f32 v37, v180, v38 :: v_dual_sub_f32 v36, v38, v180
	v_dual_add_f32 v181, v189, v33 :: v_dual_add_f32 v38, v66, v180
	s_delay_alu instid0(VALU_DEP_3) | instskip(SKIP_1) | instid1(VALU_DEP_3)
	v_dual_add_f32 v66, v39, v183 :: v_dual_sub_f32 v183, v33, v189
	v_dual_sub_f32 v39, v32, v188 :: v_dual_add_f32 v180, v187, v35
	v_dual_add_f32 v65, v38, v182 :: v_dual_add_f32 v38, v188, v32
	s_delay_alu instid0(VALU_DEP_3) | instskip(SKIP_1) | instid1(VALU_DEP_3)
	v_add_f32_e32 v33, v66, v187
	v_add_f32_e32 v172, v186, v34
	;; [unrolled: 1-line block ×3, first 2 shown]
	s_delay_alu instid0(VALU_DEP_3) | instskip(SKIP_2) | instid1(VALU_DEP_3)
	v_dual_add_f32 v33, v33, v189 :: v_dual_sub_f32 v182, v35, v187
	v_add_f32_e32 v189, v193, v191
	v_add_f32_e32 v187, v192, v190
	;; [unrolled: 1-line block ×3, first 2 shown]
	v_dual_mul_f32 v45, 0x3f3d2fb0, v181 :: v_dual_add_f32 v32, v32, v188
	v_sub_f32_e32 v186, v190, v192
	v_dual_sub_f32 v188, v191, v193 :: v_dual_mul_f32 v65, 0xbf65296c, v182
	s_delay_alu instid0(VALU_DEP_3) | instskip(SKIP_2) | instid1(VALU_DEP_3)
	v_dual_fmamk_f32 v35, v39, 0x3f2c7751, v45 :: v_dual_add_f32 v32, v32, v44
	v_mul_f32_e32 v44, 0xbf2c7751, v183
	v_fmac_f32_e32 v45, 0xbf2c7751, v39
	v_dual_fmamk_f32 v66, v172, 0x3ee437d1, v65 :: v_dual_add_f32 v35, v35, v184
	v_fma_f32 v65, 0x3ee437d1, v172, -v65
	s_delay_alu instid0(VALU_DEP_4) | instskip(SKIP_1) | instid1(VALU_DEP_2)
	v_fmamk_f32 v34, v38, 0x3f3d2fb0, v44
	v_fma_f32 v44, 0x3f3d2fb0, v38, -v44
	v_add_f32_e32 v34, v34, v185
	s_delay_alu instid0(VALU_DEP_2) | instskip(NEXT) | instid1(VALU_DEP_2)
	v_add_f32_e32 v44, v44, v118
	v_add_f32_e32 v34, v66, v34
	v_mul_f32_e32 v66, 0x3ee437d1, v180
	s_delay_alu instid0(VALU_DEP_3) | instskip(NEXT) | instid1(VALU_DEP_2)
	v_add_f32_e32 v44, v65, v44
	v_fmamk_f32 v67, v173, 0x3f65296c, v66
	s_delay_alu instid0(VALU_DEP_1) | instskip(SKIP_1) | instid1(VALU_DEP_1)
	v_add_f32_e32 v35, v67, v35
	v_mul_f32_e32 v67, 0xbf7ee86f, v179
	v_fmamk_f32 v68, v43, 0x3dbcf732, v67
	v_fma_f32 v65, 0x3dbcf732, v43, -v67
	v_mul_f32_e32 v67, 0xbf4c4adb, v182
	s_delay_alu instid0(VALU_DEP_3) | instskip(SKIP_2) | instid1(VALU_DEP_2)
	v_add_f32_e32 v34, v68, v34
	v_mul_f32_e32 v68, 0x3dbcf732, v177
	v_add_f32_e32 v45, v45, v117
	v_dual_add_f32 v44, v65, v44 :: v_dual_fmamk_f32 v69, v171, 0x3f7ee86f, v68
	s_delay_alu instid0(VALU_DEP_1) | instskip(SKIP_1) | instid1(VALU_DEP_1)
	v_add_f32_e32 v35, v69, v35
	v_mul_f32_e32 v69, 0xbf763a35, v178
	v_fmamk_f32 v70, v37, 0xbe8c1d8e, v69
	v_fma_f32 v65, 0xbe8c1d8e, v37, -v69
	s_delay_alu instid0(VALU_DEP_2) | instskip(SKIP_1) | instid1(VALU_DEP_1)
	v_add_f32_e32 v34, v70, v34
	v_mul_f32_e32 v70, 0xbe8c1d8e, v176
	v_dual_add_f32 v44, v65, v44 :: v_dual_fmamk_f32 v71, v36, 0x3f763a35, v70
	s_delay_alu instid0(VALU_DEP_1) | instskip(SKIP_2) | instid1(VALU_DEP_2)
	v_add_f32_e32 v35, v71, v35
	v_mul_f32_e32 v71, 0xbf4c4adb, v167
	v_fmac_f32_e32 v66, 0xbf65296c, v173
	v_fma_f32 v65, 0xbf1a4643, v162, -v71
	s_delay_alu instid0(VALU_DEP_2) | instskip(SKIP_2) | instid1(VALU_DEP_4)
	v_add_f32_e32 v45, v66, v45
	v_fmamk_f32 v72, v162, 0xbf1a4643, v71
	v_mul_f32_e32 v66, 0x3dbcf732, v181
	v_add_f32_e32 v44, v65, v44
	s_delay_alu instid0(VALU_DEP_3) | instskip(SKIP_1) | instid1(VALU_DEP_1)
	v_add_f32_e32 v34, v72, v34
	v_mul_f32_e32 v72, 0xbf1a4643, v41
	v_fmamk_f32 v73, v40, 0x3f4c4adb, v72
	s_delay_alu instid0(VALU_DEP_1) | instskip(SKIP_1) | instid1(VALU_DEP_1)
	v_add_f32_e32 v35, v73, v35
	v_mul_f32_e32 v73, 0xbf06c442, v174
	v_fmamk_f32 v74, v170, 0xbf59a7d5, v73
	v_fma_f32 v65, 0xbf59a7d5, v170, -v73
	s_delay_alu instid0(VALU_DEP_2) | instskip(SKIP_1) | instid1(VALU_DEP_1)
	v_add_f32_e32 v34, v74, v34
	v_mul_f32_e32 v74, 0xbf59a7d5, v175
	v_dual_add_f32 v44, v65, v44 :: v_dual_fmamk_f32 v75, v42, 0x3f06c442, v74
	s_delay_alu instid0(VALU_DEP_1) | instskip(SKIP_2) | instid1(VALU_DEP_1)
	v_add_f32_e32 v35, v75, v35
	v_mul_f32_e32 v75, 0xbe3c28d5, v188
	v_fmac_f32_e32 v68, 0xbf7ee86f, v171
	v_dual_fmamk_f32 v76, v187, 0xbf7ba420, v75 :: v_dual_add_f32 v45, v68, v45
	v_fmamk_f32 v68, v172, 0xbf1a4643, v67
	v_fma_f32 v67, 0xbf1a4643, v172, -v67
	s_delay_alu instid0(VALU_DEP_3) | instskip(SKIP_2) | instid1(VALU_DEP_2)
	v_add_f32_e32 v34, v76, v34
	v_mul_f32_e32 v76, 0xbf7ba420, v189
	v_fma_f32 v65, 0xbf7ba420, v187, -v75
	v_fmamk_f32 v77, v186, 0x3e3c28d5, v76
	s_delay_alu instid0(VALU_DEP_2) | instskip(SKIP_2) | instid1(VALU_DEP_4)
	v_add_f32_e32 v117, v65, v44
	v_mul_f32_e32 v65, 0xbf7ee86f, v183
	v_fmac_f32_e32 v72, 0xbf4c4adb, v40
	v_dual_fmac_f32 v76, 0xbe3c28d5, v186 :: v_dual_add_f32 v35, v77, v35
	s_delay_alu instid0(VALU_DEP_3) | instskip(SKIP_1) | instid1(VALU_DEP_1)
	v_fmamk_f32 v44, v38, 0x3dbcf732, v65
	v_fma_f32 v65, 0x3dbcf732, v38, -v65
	v_dual_add_f32 v44, v44, v169 :: v_dual_add_f32 v65, v65, v166
	s_delay_alu instid0(VALU_DEP_1) | instskip(NEXT) | instid1(VALU_DEP_2)
	v_add_f32_e32 v44, v68, v44
	v_dual_mul_f32 v68, 0xbf1a4643, v180 :: v_dual_add_f32 v65, v67, v65
	s_delay_alu instid0(VALU_DEP_1) | instskip(SKIP_1) | instid1(VALU_DEP_1)
	v_fmamk_f32 v69, v173, 0x3f4c4adb, v68
	v_fmac_f32_e32 v70, 0xbf763a35, v36
	v_dual_add_f32 v45, v70, v45 :: v_dual_fmac_f32 v74, 0xbf06c442, v42
	s_delay_alu instid0(VALU_DEP_1) | instskip(NEXT) | instid1(VALU_DEP_1)
	v_add_f32_e32 v45, v72, v45
	v_add_f32_e32 v45, v74, v45
	s_delay_alu instid0(VALU_DEP_1) | instskip(NEXT) | instid1(VALU_DEP_1)
	v_dual_add_f32 v118, v76, v45 :: v_dual_fmamk_f32 v45, v39, 0x3f7ee86f, v66
	v_dual_fmac_f32 v66, 0xbf7ee86f, v39 :: v_dual_add_f32 v45, v45, v168
	s_delay_alu instid0(VALU_DEP_1) | instskip(NEXT) | instid1(VALU_DEP_2)
	v_add_f32_e32 v66, v66, v165
	v_add_f32_e32 v45, v69, v45
	v_mul_f32_e32 v69, 0xbe3c28d5, v179
	s_delay_alu instid0(VALU_DEP_1) | instskip(SKIP_1) | instid1(VALU_DEP_2)
	v_fmamk_f32 v70, v43, 0xbf7ba420, v69
	v_fma_f32 v67, 0xbf7ba420, v43, -v69
	v_dual_mul_f32 v69, 0x3e3c28d5, v182 :: v_dual_add_f32 v44, v70, v44
	v_mul_f32_e32 v70, 0xbf7ba420, v177
	s_delay_alu instid0(VALU_DEP_3) | instskip(NEXT) | instid1(VALU_DEP_2)
	v_add_f32_e32 v65, v67, v65
	v_fmamk_f32 v71, v171, 0x3e3c28d5, v70
	s_delay_alu instid0(VALU_DEP_1) | instskip(SKIP_1) | instid1(VALU_DEP_1)
	v_dual_fmac_f32 v70, 0xbe3c28d5, v171 :: v_dual_add_f32 v45, v71, v45
	v_mul_f32_e32 v71, 0x3f06c442, v178
	v_fmamk_f32 v72, v37, 0xbf59a7d5, v71
	v_fma_f32 v67, 0xbf59a7d5, v37, -v71
	s_delay_alu instid0(VALU_DEP_2) | instskip(NEXT) | instid1(VALU_DEP_2)
	v_add_f32_e32 v44, v72, v44
	v_dual_mul_f32 v72, 0xbf59a7d5, v176 :: v_dual_add_f32 v65, v67, v65
	s_delay_alu instid0(VALU_DEP_1) | instskip(NEXT) | instid1(VALU_DEP_1)
	v_fmamk_f32 v73, v36, 0xbf06c442, v72
	v_dual_fmac_f32 v72, 0x3f06c442, v36 :: v_dual_add_f32 v45, v73, v45
	v_mul_f32_e32 v73, 0x3f763a35, v167
	s_delay_alu instid0(VALU_DEP_1) | instskip(SKIP_1) | instid1(VALU_DEP_2)
	v_fmamk_f32 v74, v162, 0xbe8c1d8e, v73
	v_fma_f32 v67, 0xbe8c1d8e, v162, -v73
	v_add_f32_e32 v44, v74, v44
	v_mul_f32_e32 v74, 0xbe8c1d8e, v41
	s_delay_alu instid0(VALU_DEP_3) | instskip(NEXT) | instid1(VALU_DEP_2)
	v_add_f32_e32 v65, v67, v65
	v_fmamk_f32 v75, v40, 0xbf763a35, v74
	s_delay_alu instid0(VALU_DEP_1) | instskip(SKIP_1) | instid1(VALU_DEP_1)
	v_dual_fmac_f32 v74, 0x3f763a35, v40 :: v_dual_add_f32 v45, v75, v45
	v_mul_f32_e32 v75, 0x3f65296c, v174
	v_fmamk_f32 v76, v170, 0x3ee437d1, v75
	s_delay_alu instid0(VALU_DEP_1) | instskip(SKIP_2) | instid1(VALU_DEP_2)
	v_add_f32_e32 v44, v76, v44
	v_mul_f32_e32 v76, 0x3ee437d1, v175
	v_fma_f32 v67, 0x3ee437d1, v170, -v75
	v_fmamk_f32 v77, v42, 0xbf65296c, v76
	s_delay_alu instid0(VALU_DEP_2) | instskip(NEXT) | instid1(VALU_DEP_2)
	v_dual_add_f32 v65, v67, v65 :: v_dual_fmac_f32 v76, 0x3f65296c, v42
	v_add_f32_e32 v45, v77, v45
	v_fmac_f32_e32 v68, 0xbf4c4adb, v173
	s_delay_alu instid0(VALU_DEP_1) | instskip(NEXT) | instid1(VALU_DEP_1)
	v_dual_add_f32 v66, v68, v66 :: v_dual_mul_f32 v77, 0x3eb8f4ab, v188
	v_add_f32_e32 v66, v70, v66
	s_delay_alu instid0(VALU_DEP_2) | instskip(SKIP_2) | instid1(VALU_DEP_4)
	v_fmamk_f32 v78, v187, 0x3f6eb680, v77
	v_fma_f32 v67, 0x3f6eb680, v187, -v77
	v_fmamk_f32 v70, v172, 0xbf7ba420, v69
	v_add_f32_e32 v66, v72, v66
	s_delay_alu instid0(VALU_DEP_4) | instskip(SKIP_2) | instid1(VALU_DEP_4)
	v_add_f32_e32 v44, v78, v44
	v_mul_f32_e32 v78, 0x3f6eb680, v189
	v_add_f32_e32 v165, v67, v65
	v_dual_mul_f32 v65, 0xbf4c4adb, v183 :: v_dual_add_f32 v66, v74, v66
	v_mul_f32_e32 v67, 0xbf1a4643, v181
	s_delay_alu instid0(VALU_DEP_4) | instskip(SKIP_1) | instid1(VALU_DEP_4)
	v_fmamk_f32 v79, v186, 0xbeb8f4ab, v78
	v_fmac_f32_e32 v78, 0x3eb8f4ab, v186
	v_add_f32_e32 v66, v76, v66
	s_delay_alu instid0(VALU_DEP_4) | instskip(NEXT) | instid1(VALU_DEP_4)
	v_fmamk_f32 v68, v39, 0x3f4c4adb, v67
	v_add_f32_e32 v45, v79, v45
	s_delay_alu instid0(VALU_DEP_3) | instskip(SKIP_1) | instid1(VALU_DEP_4)
	v_dual_fmac_f32 v67, 0xbf4c4adb, v39 :: v_dual_add_f32 v166, v78, v66
	v_fmamk_f32 v66, v38, 0xbf1a4643, v65
	v_add_f32_e32 v68, v68, v163
	v_fma_f32 v65, 0xbf1a4643, v38, -v65
	s_delay_alu instid0(VALU_DEP_4) | instskip(NEXT) | instid1(VALU_DEP_2)
	v_add_f32_e32 v67, v67, v160
	v_dual_add_f32 v66, v66, v164 :: v_dual_add_f32 v65, v65, v161
	s_delay_alu instid0(VALU_DEP_1) | instskip(SKIP_1) | instid1(VALU_DEP_1)
	v_add_f32_e32 v66, v70, v66
	v_mul_f32_e32 v70, 0xbf7ba420, v180
	v_fmamk_f32 v71, v173, 0xbe3c28d5, v70
	s_delay_alu instid0(VALU_DEP_1) | instskip(NEXT) | instid1(VALU_DEP_1)
	v_dual_add_f32 v68, v71, v68 :: v_dual_mul_f32 v71, 0x3f763a35, v179
	v_fmamk_f32 v72, v43, 0xbe8c1d8e, v71
	s_delay_alu instid0(VALU_DEP_1) | instskip(SKIP_1) | instid1(VALU_DEP_1)
	v_add_f32_e32 v66, v72, v66
	v_mul_f32_e32 v72, 0xbe8c1d8e, v177
	v_fmamk_f32 v73, v171, 0xbf763a35, v72
	v_fmac_f32_e32 v72, 0x3f763a35, v171
	s_delay_alu instid0(VALU_DEP_2) | instskip(NEXT) | instid1(VALU_DEP_1)
	v_dual_add_f32 v68, v73, v68 :: v_dual_mul_f32 v73, 0x3f2c7751, v178
	v_fmamk_f32 v74, v37, 0x3f3d2fb0, v73
	s_delay_alu instid0(VALU_DEP_1) | instskip(SKIP_1) | instid1(VALU_DEP_1)
	v_add_f32_e32 v66, v74, v66
	v_mul_f32_e32 v74, 0x3f3d2fb0, v176
	v_fmamk_f32 v75, v36, 0xbf2c7751, v74
	v_fmac_f32_e32 v74, 0x3f2c7751, v36
	s_delay_alu instid0(VALU_DEP_2) | instskip(NEXT) | instid1(VALU_DEP_1)
	;; [unrolled: 8-line block ×3, first 2 shown]
	v_dual_add_f32 v68, v77, v68 :: v_dual_mul_f32 v77, 0xbf7ee86f, v174
	v_fmamk_f32 v78, v170, 0x3dbcf732, v77
	s_delay_alu instid0(VALU_DEP_1) | instskip(SKIP_1) | instid1(VALU_DEP_1)
	v_add_f32_e32 v66, v78, v66
	v_mul_f32_e32 v78, 0x3dbcf732, v175
	v_fmamk_f32 v79, v42, 0x3f7ee86f, v78
	v_fmac_f32_e32 v78, 0xbf7ee86f, v42
	s_delay_alu instid0(VALU_DEP_2) | instskip(SKIP_1) | instid1(VALU_DEP_1)
	v_add_f32_e32 v68, v79, v68
	v_mul_f32_e32 v79, 0xbf06c442, v188
	v_fmamk_f32 v80, v187, 0xbf59a7d5, v79
	s_delay_alu instid0(VALU_DEP_1) | instskip(NEXT) | instid1(VALU_DEP_1)
	v_dual_add_f32 v163, v80, v66 :: v_dual_mul_f32 v66, 0xbf59a7d5, v189
	v_fmamk_f32 v80, v186, 0x3f06c442, v66
	v_fmac_f32_e32 v66, 0xbf06c442, v186
	s_delay_alu instid0(VALU_DEP_2) | instskip(SKIP_2) | instid1(VALU_DEP_2)
	v_add_f32_e32 v164, v80, v68
	v_fma_f32 v68, 0xbf7ba420, v172, -v69
	v_mul_f32_e32 v69, 0x3f763a35, v182
	v_add_f32_e32 v65, v68, v65
	v_fma_f32 v68, 0xbe8c1d8e, v43, -v71
	s_delay_alu instid0(VALU_DEP_1) | instskip(SKIP_1) | instid1(VALU_DEP_1)
	v_add_f32_e32 v65, v68, v65
	v_fma_f32 v68, 0x3f3d2fb0, v37, -v73
	v_add_f32_e32 v65, v68, v65
	v_fma_f32 v68, 0x3f6eb680, v162, -v75
	s_delay_alu instid0(VALU_DEP_1) | instskip(SKIP_1) | instid1(VALU_DEP_1)
	v_add_f32_e32 v65, v68, v65
	v_fma_f32 v68, 0x3dbcf732, v170, -v77
	v_add_f32_e32 v65, v68, v65
	v_fmac_f32_e32 v70, 0x3e3c28d5, v173
	v_fma_f32 v68, 0xbf59a7d5, v187, -v79
	s_delay_alu instid0(VALU_DEP_1) | instskip(SKIP_2) | instid1(VALU_DEP_3)
	v_dual_add_f32 v67, v70, v67 :: v_dual_add_f32 v160, v68, v65
	v_mul_f32_e32 v65, 0xbe3c28d5, v183
	v_fmamk_f32 v70, v172, 0xbe8c1d8e, v69
	v_add_f32_e32 v67, v72, v67
	s_delay_alu instid0(VALU_DEP_1) | instskip(NEXT) | instid1(VALU_DEP_1)
	v_add_f32_e32 v67, v74, v67
	v_add_f32_e32 v67, v76, v67
	s_delay_alu instid0(VALU_DEP_1) | instskip(NEXT) | instid1(VALU_DEP_1)
	v_add_f32_e32 v67, v78, v67
	v_add_f32_e32 v161, v66, v67
	v_dual_fmamk_f32 v66, v38, 0xbf7ba420, v65 :: v_dual_mul_f32 v67, 0xbf7ba420, v181
	v_fma_f32 v65, 0xbf7ba420, v38, -v65
	s_delay_alu instid0(VALU_DEP_2) | instskip(NEXT) | instid1(VALU_DEP_3)
	v_add_f32_e32 v66, v66, v159
	v_fmamk_f32 v68, v39, 0x3e3c28d5, v67
	v_fmac_f32_e32 v67, 0xbe3c28d5, v39
	s_delay_alu instid0(VALU_DEP_3) | instskip(SKIP_1) | instid1(VALU_DEP_4)
	v_dual_add_f32 v65, v65, v155 :: v_dual_add_f32 v66, v70, v66
	v_mul_f32_e32 v70, 0xbe8c1d8e, v180
	v_add_f32_e32 v68, v68, v156
	s_delay_alu instid0(VALU_DEP_4) | instskip(NEXT) | instid1(VALU_DEP_3)
	v_add_f32_e32 v67, v67, v140
	v_fmamk_f32 v71, v173, 0xbf763a35, v70
	v_fmac_f32_e32 v70, 0x3f763a35, v173
	s_delay_alu instid0(VALU_DEP_2) | instskip(NEXT) | instid1(VALU_DEP_1)
	v_dual_add_f32 v68, v71, v68 :: v_dual_mul_f32 v71, 0x3eb8f4ab, v179
	v_dual_add_f32 v67, v70, v67 :: v_dual_fmamk_f32 v72, v43, 0x3f6eb680, v71
	s_delay_alu instid0(VALU_DEP_1) | instskip(SKIP_1) | instid1(VALU_DEP_1)
	v_add_f32_e32 v66, v72, v66
	v_mul_f32_e32 v72, 0x3f6eb680, v177
	v_fmamk_f32 v73, v171, 0xbeb8f4ab, v72
	v_fmac_f32_e32 v72, 0x3eb8f4ab, v171
	s_delay_alu instid0(VALU_DEP_2) | instskip(NEXT) | instid1(VALU_DEP_1)
	v_dual_add_f32 v68, v73, v68 :: v_dual_mul_f32 v73, 0xbf65296c, v178
	v_dual_add_f32 v67, v72, v67 :: v_dual_fmamk_f32 v74, v37, 0x3ee437d1, v73
	s_delay_alu instid0(VALU_DEP_1) | instskip(SKIP_1) | instid1(VALU_DEP_1)
	v_add_f32_e32 v66, v74, v66
	v_mul_f32_e32 v74, 0x3ee437d1, v176
	v_fmamk_f32 v75, v36, 0x3f65296c, v74
	v_fmac_f32_e32 v74, 0xbf65296c, v36
	s_delay_alu instid0(VALU_DEP_2) | instskip(NEXT) | instid1(VALU_DEP_2)
	v_dual_add_f32 v68, v75, v68 :: v_dual_mul_f32 v75, 0xbf06c442, v167
	v_add_f32_e32 v67, v74, v67
	s_delay_alu instid0(VALU_DEP_2) | instskip(NEXT) | instid1(VALU_DEP_1)
	v_fmamk_f32 v76, v162, 0xbf59a7d5, v75
	v_add_f32_e32 v66, v76, v66
	v_mul_f32_e32 v76, 0xbf59a7d5, v41
	s_delay_alu instid0(VALU_DEP_1) | instskip(SKIP_1) | instid1(VALU_DEP_2)
	v_fmamk_f32 v77, v40, 0x3f06c442, v76
	v_fmac_f32_e32 v76, 0xbf06c442, v40
	v_dual_add_f32 v68, v77, v68 :: v_dual_mul_f32 v77, 0x3f4c4adb, v174
	s_delay_alu instid0(VALU_DEP_1) | instskip(NEXT) | instid1(VALU_DEP_1)
	v_dual_add_f32 v67, v76, v67 :: v_dual_fmamk_f32 v78, v170, 0xbf1a4643, v77
	v_add_f32_e32 v66, v78, v66
	v_mul_f32_e32 v78, 0xbf1a4643, v175
	s_delay_alu instid0(VALU_DEP_1) | instskip(SKIP_1) | instid1(VALU_DEP_2)
	v_fmamk_f32 v79, v42, 0xbf4c4adb, v78
	v_fmac_f32_e32 v78, 0x3f4c4adb, v42
	v_add_f32_e32 v68, v79, v68
	v_mul_f32_e32 v79, 0x3f2c7751, v188
	s_delay_alu instid0(VALU_DEP_1) | instskip(NEXT) | instid1(VALU_DEP_1)
	v_dual_add_f32 v67, v78, v67 :: v_dual_fmamk_f32 v80, v187, 0x3f3d2fb0, v79
	v_add_f32_e32 v168, v80, v66
	v_mul_f32_e32 v66, 0x3f3d2fb0, v189
	s_delay_alu instid0(VALU_DEP_1) | instskip(NEXT) | instid1(VALU_DEP_1)
	v_fmamk_f32 v80, v186, 0xbf2c7751, v66
	v_dual_fmac_f32 v66, 0x3f2c7751, v186 :: v_dual_add_f32 v169, v80, v68
	v_fma_f32 v68, 0xbe8c1d8e, v172, -v69
	s_delay_alu instid0(VALU_DEP_2) | instskip(NEXT) | instid1(VALU_DEP_2)
	v_dual_add_f32 v156, v66, v67 :: v_dual_mul_f32 v67, 0xbf59a7d5, v181
	v_add_f32_e32 v65, v68, v65
	v_fma_f32 v68, 0x3f6eb680, v43, -v71
	s_delay_alu instid0(VALU_DEP_1) | instskip(SKIP_1) | instid1(VALU_DEP_1)
	v_add_f32_e32 v65, v68, v65
	v_fma_f32 v68, 0x3ee437d1, v37, -v73
	v_add_f32_e32 v65, v68, v65
	v_fma_f32 v68, 0xbf59a7d5, v162, -v75
	s_delay_alu instid0(VALU_DEP_1) | instskip(SKIP_1) | instid1(VALU_DEP_1)
	v_add_f32_e32 v65, v68, v65
	v_fma_f32 v68, 0xbf1a4643, v170, -v77
	v_add_f32_e32 v65, v68, v65
	v_fma_f32 v68, 0x3f3d2fb0, v187, -v79
	s_delay_alu instid0(VALU_DEP_1) | instskip(SKIP_3) | instid1(VALU_DEP_2)
	v_add_f32_e32 v155, v68, v65
	v_mul_f32_e32 v65, 0x3f06c442, v183
	v_fmamk_f32 v68, v39, 0xbf06c442, v67
	v_fmac_f32_e32 v67, 0x3f06c442, v39
	v_dual_fmamk_f32 v66, v38, 0xbf59a7d5, v65 :: v_dual_add_f32 v63, v68, v63
	s_delay_alu instid0(VALU_DEP_2) | instskip(NEXT) | instid1(VALU_DEP_1)
	v_dual_mul_f32 v68, 0x3f2c7751, v182 :: v_dual_add_f32 v61, v67, v61
	v_dual_add_f32 v66, v66, v139 :: v_dual_fmamk_f32 v69, v172, 0x3f3d2fb0, v68
	s_delay_alu instid0(VALU_DEP_1) | instskip(NEXT) | instid1(VALU_DEP_1)
	v_dual_add_f32 v66, v69, v66 :: v_dual_mul_f32 v69, 0x3f3d2fb0, v180
	v_fmamk_f32 v70, v173, 0xbf2c7751, v69
	v_fmac_f32_e32 v69, 0x3f2c7751, v173
	s_delay_alu instid0(VALU_DEP_2) | instskip(NEXT) | instid1(VALU_DEP_2)
	v_add_f32_e32 v63, v70, v63
	v_dual_mul_f32 v70, 0xbf65296c, v179 :: v_dual_add_f32 v61, v69, v61
	s_delay_alu instid0(VALU_DEP_1) | instskip(NEXT) | instid1(VALU_DEP_1)
	v_fmamk_f32 v71, v43, 0x3ee437d1, v70
	v_dual_add_f32 v66, v71, v66 :: v_dual_mul_f32 v71, 0x3ee437d1, v177
	s_delay_alu instid0(VALU_DEP_1) | instskip(SKIP_1) | instid1(VALU_DEP_2)
	v_fmamk_f32 v72, v171, 0x3f65296c, v71
	v_fmac_f32_e32 v71, 0xbf65296c, v171
	v_dual_add_f32 v63, v72, v63 :: v_dual_mul_f32 v72, 0xbe3c28d5, v178
	s_delay_alu instid0(VALU_DEP_2) | instskip(NEXT) | instid1(VALU_DEP_2)
	v_add_f32_e32 v61, v71, v61
	v_fmamk_f32 v73, v37, 0xbf7ba420, v72
	s_delay_alu instid0(VALU_DEP_1) | instskip(NEXT) | instid1(VALU_DEP_1)
	v_dual_add_f32 v66, v73, v66 :: v_dual_mul_f32 v73, 0xbf7ba420, v176
	v_fmamk_f32 v74, v36, 0x3e3c28d5, v73
	v_fmac_f32_e32 v73, 0xbe3c28d5, v36
	s_delay_alu instid0(VALU_DEP_2) | instskip(NEXT) | instid1(VALU_DEP_2)
	v_add_f32_e32 v63, v74, v63
	v_dual_mul_f32 v74, 0x3f7ee86f, v167 :: v_dual_add_f32 v61, v73, v61
	s_delay_alu instid0(VALU_DEP_1) | instskip(NEXT) | instid1(VALU_DEP_1)
	v_fmamk_f32 v75, v162, 0x3dbcf732, v74
	v_dual_add_f32 v66, v75, v66 :: v_dual_mul_f32 v75, 0x3dbcf732, v41
	s_delay_alu instid0(VALU_DEP_1) | instskip(SKIP_1) | instid1(VALU_DEP_2)
	v_fmamk_f32 v76, v40, 0xbf7ee86f, v75
	v_fmac_f32_e32 v75, 0x3f7ee86f, v40
	v_dual_add_f32 v63, v76, v63 :: v_dual_mul_f32 v76, 0xbeb8f4ab, v174
	s_delay_alu instid0(VALU_DEP_2) | instskip(NEXT) | instid1(VALU_DEP_2)
	v_add_f32_e32 v61, v75, v61
	v_fmamk_f32 v77, v170, 0x3f6eb680, v76
	s_delay_alu instid0(VALU_DEP_1) | instskip(NEXT) | instid1(VALU_DEP_1)
	v_dual_add_f32 v66, v77, v66 :: v_dual_mul_f32 v77, 0x3f6eb680, v175
	v_fmamk_f32 v78, v42, 0x3eb8f4ab, v77
	v_fmac_f32_e32 v77, 0xbeb8f4ab, v42
	s_delay_alu instid0(VALU_DEP_2) | instskip(NEXT) | instid1(VALU_DEP_1)
	v_dual_add_f32 v63, v78, v63 :: v_dual_mul_f32 v78, 0xbf4c4adb, v188
	v_fmamk_f32 v79, v187, 0xbf1a4643, v78
	s_delay_alu instid0(VALU_DEP_1) | instskip(NEXT) | instid1(VALU_DEP_1)
	v_dual_add_f32 v139, v79, v66 :: v_dual_mul_f32 v66, 0xbf1a4643, v189
	v_fmamk_f32 v79, v186, 0x3f4c4adb, v66
	v_fmac_f32_e32 v66, 0xbf4c4adb, v186
	s_delay_alu instid0(VALU_DEP_2) | instskip(SKIP_1) | instid1(VALU_DEP_1)
	v_add_f32_e32 v140, v79, v63
	v_fma_f32 v63, 0xbf59a7d5, v38, -v65
	v_add_f32_e32 v62, v63, v62
	v_fma_f32 v63, 0x3f3d2fb0, v172, -v68
	s_delay_alu instid0(VALU_DEP_1) | instskip(SKIP_1) | instid1(VALU_DEP_1)
	v_add_f32_e32 v62, v63, v62
	v_fma_f32 v63, 0x3ee437d1, v43, -v70
	v_add_f32_e32 v62, v63, v62
	v_fma_f32 v63, 0xbf7ba420, v37, -v72
	s_delay_alu instid0(VALU_DEP_1) | instskip(SKIP_1) | instid1(VALU_DEP_1)
	v_add_f32_e32 v62, v63, v62
	v_fma_f32 v63, 0x3dbcf732, v162, -v74
	v_add_f32_e32 v62, v63, v62
	v_fma_f32 v63, 0x3f6eb680, v170, -v76
	s_delay_alu instid0(VALU_DEP_1) | instskip(SKIP_2) | instid1(VALU_DEP_2)
	v_dual_add_f32 v62, v63, v62 :: v_dual_add_f32 v63, v77, v61
	v_fma_f32 v61, 0xbf1a4643, v187, -v78
	v_mul_f32_e32 v77, 0x3f65296c, v188
	v_dual_mul_f32 v78, 0x3ee437d1, v189 :: v_dual_add_f32 v61, v61, v62
	s_delay_alu instid0(VALU_DEP_4) | instskip(SKIP_1) | instid1(VALU_DEP_1)
	v_add_f32_e32 v62, v66, v63
	v_mul_f32_e32 v63, 0x3f763a35, v183
	v_fmamk_f32 v65, v38, 0xbe8c1d8e, v63
	v_fma_f32 v63, 0xbe8c1d8e, v38, -v63
	s_delay_alu instid0(VALU_DEP_2) | instskip(NEXT) | instid1(VALU_DEP_2)
	v_dual_add_f32 v60, v65, v60 :: v_dual_mul_f32 v65, 0xbe8c1d8e, v181
	v_add_f32_e32 v58, v63, v58
	s_delay_alu instid0(VALU_DEP_2) | instskip(SKIP_1) | instid1(VALU_DEP_2)
	v_fmamk_f32 v66, v39, 0xbf763a35, v65
	v_fmac_f32_e32 v65, 0x3f763a35, v39
	v_dual_add_f32 v59, v66, v59 :: v_dual_mul_f32 v66, 0xbeb8f4ab, v182
	s_delay_alu instid0(VALU_DEP_2) | instskip(NEXT) | instid1(VALU_DEP_2)
	v_add_f32_e32 v57, v65, v57
	v_fmamk_f32 v67, v172, 0x3f6eb680, v66
	v_fma_f32 v63, 0x3f6eb680, v172, -v66
	s_delay_alu instid0(VALU_DEP_2) | instskip(NEXT) | instid1(VALU_DEP_2)
	v_add_f32_e32 v60, v67, v60
	v_dual_mul_f32 v67, 0x3f6eb680, v180 :: v_dual_add_f32 v58, v63, v58
	s_delay_alu instid0(VALU_DEP_1) | instskip(SKIP_1) | instid1(VALU_DEP_2)
	v_fmamk_f32 v68, v173, 0x3eb8f4ab, v67
	v_fmac_f32_e32 v67, 0xbeb8f4ab, v173
	v_add_f32_e32 v59, v68, v59
	s_delay_alu instid0(VALU_DEP_2) | instskip(NEXT) | instid1(VALU_DEP_1)
	v_dual_mul_f32 v68, 0xbf06c442, v179 :: v_dual_add_f32 v57, v67, v57
	v_fmamk_f32 v69, v43, 0xbf59a7d5, v68
	v_fma_f32 v63, 0xbf59a7d5, v43, -v68
	s_delay_alu instid0(VALU_DEP_2) | instskip(NEXT) | instid1(VALU_DEP_2)
	v_dual_add_f32 v60, v69, v60 :: v_dual_mul_f32 v69, 0xbf59a7d5, v177
	v_add_f32_e32 v58, v63, v58
	s_delay_alu instid0(VALU_DEP_2) | instskip(SKIP_1) | instid1(VALU_DEP_2)
	v_fmamk_f32 v70, v171, 0x3f06c442, v69
	v_fmac_f32_e32 v69, 0xbf06c442, v171
	v_dual_add_f32 v59, v70, v59 :: v_dual_mul_f32 v70, 0x3f7ee86f, v178
	s_delay_alu instid0(VALU_DEP_2) | instskip(NEXT) | instid1(VALU_DEP_2)
	v_add_f32_e32 v57, v69, v57
	v_fmamk_f32 v71, v37, 0x3dbcf732, v70
	s_delay_alu instid0(VALU_DEP_1) | instskip(SKIP_1) | instid1(VALU_DEP_1)
	v_add_f32_e32 v60, v71, v60
	v_mul_f32_e32 v71, 0x3dbcf732, v176
	v_fmamk_f32 v72, v36, 0xbf7ee86f, v71
	v_fmac_f32_e32 v71, 0x3f7ee86f, v36
	v_fma_f32 v63, 0x3dbcf732, v37, -v70
	s_delay_alu instid0(VALU_DEP_3) | instskip(SKIP_1) | instid1(VALU_DEP_3)
	v_add_f32_e32 v59, v72, v59
	v_mul_f32_e32 v72, 0xbf2c7751, v167
	v_add_f32_e32 v58, v63, v58
	v_add_f32_e32 v57, v71, v57
	s_delay_alu instid0(VALU_DEP_3) | instskip(NEXT) | instid1(VALU_DEP_1)
	v_fmamk_f32 v73, v162, 0x3f3d2fb0, v72
	v_dual_add_f32 v60, v73, v60 :: v_dual_mul_f32 v73, 0x3f3d2fb0, v41
	s_delay_alu instid0(VALU_DEP_1) | instskip(SKIP_2) | instid1(VALU_DEP_3)
	v_fmamk_f32 v74, v40, 0x3f2c7751, v73
	v_fmac_f32_e32 v73, 0xbf2c7751, v40
	v_fma_f32 v63, 0x3f3d2fb0, v162, -v72
	v_dual_add_f32 v59, v74, v59 :: v_dual_mul_f32 v74, 0xbe3c28d5, v174
	s_delay_alu instid0(VALU_DEP_2) | instskip(NEXT) | instid1(VALU_DEP_2)
	v_dual_add_f32 v58, v63, v58 :: v_dual_add_f32 v57, v73, v57
	v_fmamk_f32 v75, v170, 0xbf7ba420, v74
	v_fma_f32 v63, 0xbf7ba420, v170, -v74
	s_delay_alu instid0(VALU_DEP_2) | instskip(NEXT) | instid1(VALU_DEP_2)
	v_dual_add_f32 v60, v75, v60 :: v_dual_mul_f32 v75, 0xbf7ba420, v175
	v_add_f32_e32 v58, v63, v58
	s_delay_alu instid0(VALU_DEP_2) | instskip(NEXT) | instid1(VALU_DEP_1)
	v_fmamk_f32 v76, v42, 0x3e3c28d5, v75
	v_dual_fmac_f32 v75, 0xbe3c28d5, v42 :: v_dual_add_f32 v76, v76, v59
	v_fmamk_f32 v59, v187, 0x3ee437d1, v77
	s_delay_alu instid0(VALU_DEP_2) | instskip(SKIP_2) | instid1(VALU_DEP_4)
	v_add_f32_e32 v63, v75, v57
	v_fma_f32 v57, 0x3ee437d1, v187, -v77
	v_mul_f32_e32 v77, 0xbf763a35, v188
	v_dual_add_f32 v59, v59, v60 :: v_dual_fmamk_f32 v60, v186, 0xbf65296c, v78
	v_fmac_f32_e32 v78, 0x3f65296c, v186
	s_delay_alu instid0(VALU_DEP_2) | instskip(NEXT) | instid1(VALU_DEP_2)
	v_dual_add_f32 v57, v57, v58 :: v_dual_add_f32 v60, v60, v76
	v_add_f32_e32 v58, v78, v63
	v_mul_f32_e32 v63, 0x3f65296c, v183
	v_mul_f32_e32 v78, 0xbe8c1d8e, v189
	s_delay_alu instid0(VALU_DEP_2) | instskip(NEXT) | instid1(VALU_DEP_1)
	v_fmamk_f32 v65, v38, 0x3ee437d1, v63
	v_dual_add_f32 v56, v65, v56 :: v_dual_mul_f32 v65, 0x3ee437d1, v181
	s_delay_alu instid0(VALU_DEP_1) | instskip(SKIP_1) | instid1(VALU_DEP_2)
	v_fmamk_f32 v66, v39, 0xbf65296c, v65
	v_fmac_f32_e32 v65, 0x3f65296c, v39
	v_dual_add_f32 v55, v66, v55 :: v_dual_mul_f32 v66, 0xbf7ee86f, v182
	s_delay_alu instid0(VALU_DEP_1) | instskip(NEXT) | instid1(VALU_DEP_1)
	v_fmamk_f32 v67, v172, 0x3dbcf732, v66
	v_add_f32_e32 v56, v67, v56
	v_mul_f32_e32 v67, 0x3dbcf732, v180
	s_delay_alu instid0(VALU_DEP_1) | instskip(NEXT) | instid1(VALU_DEP_1)
	v_fmamk_f32 v68, v173, 0x3f7ee86f, v67
	v_add_f32_e32 v55, v68, v55
	v_mul_f32_e32 v68, 0x3f4c4adb, v179
	s_delay_alu instid0(VALU_DEP_1) | instskip(NEXT) | instid1(VALU_DEP_1)
	v_fmamk_f32 v69, v43, 0xbf1a4643, v68
	v_dual_add_f32 v56, v69, v56 :: v_dual_mul_f32 v69, 0xbf1a4643, v177
	s_delay_alu instid0(VALU_DEP_1) | instskip(SKIP_1) | instid1(VALU_DEP_2)
	v_fmamk_f32 v70, v171, 0xbf4c4adb, v69
	v_fmac_f32_e32 v69, 0x3f4c4adb, v171
	v_dual_add_f32 v55, v70, v55 :: v_dual_mul_f32 v70, 0xbeb8f4ab, v178
	s_delay_alu instid0(VALU_DEP_1) | instskip(NEXT) | instid1(VALU_DEP_1)
	v_fmamk_f32 v71, v37, 0x3f6eb680, v70
	v_add_f32_e32 v56, v71, v56
	v_mul_f32_e32 v71, 0x3f6eb680, v176
	s_delay_alu instid0(VALU_DEP_1) | instskip(NEXT) | instid1(VALU_DEP_1)
	v_fmamk_f32 v72, v36, 0x3eb8f4ab, v71
	v_add_f32_e32 v55, v72, v55
	v_mul_f32_e32 v72, 0xbe3c28d5, v167
	s_delay_alu instid0(VALU_DEP_1) | instskip(NEXT) | instid1(VALU_DEP_1)
	v_fmamk_f32 v73, v162, 0xbf7ba420, v72
	v_dual_add_f32 v56, v73, v56 :: v_dual_mul_f32 v73, 0xbf7ba420, v41
	s_delay_alu instid0(VALU_DEP_1) | instskip(SKIP_1) | instid1(VALU_DEP_2)
	v_fmamk_f32 v74, v40, 0x3e3c28d5, v73
	v_fmac_f32_e32 v73, 0xbe3c28d5, v40
	v_dual_add_f32 v55, v74, v55 :: v_dual_mul_f32 v74, 0x3f2c7751, v174
	s_delay_alu instid0(VALU_DEP_1) | instskip(NEXT) | instid1(VALU_DEP_1)
	v_fmamk_f32 v75, v170, 0x3f3d2fb0, v74
	v_dual_add_f32 v56, v75, v56 :: v_dual_mul_f32 v75, 0x3f3d2fb0, v175
	s_delay_alu instid0(VALU_DEP_1) | instskip(NEXT) | instid1(VALU_DEP_1)
	v_fmamk_f32 v76, v42, 0xbf2c7751, v75
	v_dual_fmac_f32 v75, 0x3f2c7751, v42 :: v_dual_add_f32 v76, v76, v55
	v_fmamk_f32 v55, v187, 0xbe8c1d8e, v77
	v_fmac_f32_e32 v71, 0xbeb8f4ab, v36
	v_fmac_f32_e32 v67, 0xbf7ee86f, v173
	s_delay_alu instid0(VALU_DEP_3) | instskip(NEXT) | instid1(VALU_DEP_1)
	v_dual_add_f32 v55, v55, v56 :: v_dual_fmamk_f32 v56, v186, 0x3f763a35, v78
	v_add_f32_e32 v56, v56, v76
	v_mul_f32_e32 v76, 0x3eb8f4ab, v183
	s_delay_alu instid0(VALU_DEP_1) | instskip(SKIP_2) | instid1(VALU_DEP_3)
	v_fmamk_f32 v79, v38, 0x3f6eb680, v76
	v_fma_f32 v76, 0x3f6eb680, v38, -v76
	v_fma_f32 v38, 0x3ee437d1, v38, -v63
	v_dual_mul_f32 v41, 0x3ee437d1, v41 :: v_dual_add_f32 v54, v79, v54
	s_delay_alu instid0(VALU_DEP_2) | instskip(NEXT) | instid1(VALU_DEP_4)
	v_dual_mul_f32 v79, 0x3f6eb680, v181 :: v_dual_add_f32 v38, v38, v46
	v_add_f32_e32 v52, v76, v52
	v_dual_add_f32 v46, v65, v47 :: v_dual_mul_f32 v153, 0x3dbcf732, v189
	s_delay_alu instid0(VALU_DEP_3) | instskip(NEXT) | instid1(VALU_DEP_2)
	v_fmamk_f32 v80, v39, 0xbeb8f4ab, v79
	v_add_f32_e32 v46, v67, v46
	s_delay_alu instid0(VALU_DEP_2) | instskip(SKIP_1) | instid1(VALU_DEP_1)
	v_dual_mul_f32 v152, 0x3f7ee86f, v188 :: v_dual_add_f32 v53, v80, v53
	v_mul_f32_e32 v80, 0xbf06c442, v182
	v_fmamk_f32 v81, v172, 0xbf59a7d5, v80
	s_delay_alu instid0(VALU_DEP_1) | instskip(NEXT) | instid1(VALU_DEP_1)
	v_dual_add_f32 v54, v81, v54 :: v_dual_mul_f32 v81, 0xbf59a7d5, v180
	v_fmamk_f32 v82, v173, 0x3f06c442, v81
	v_fmac_f32_e32 v81, 0xbf06c442, v173
	s_delay_alu instid0(VALU_DEP_2) | instskip(NEXT) | instid1(VALU_DEP_1)
	v_dual_add_f32 v53, v82, v53 :: v_dual_mul_f32 v82, 0x3f2c7751, v179
	v_fmamk_f32 v145, v43, 0x3f3d2fb0, v82
	s_delay_alu instid0(VALU_DEP_1) | instskip(NEXT) | instid1(VALU_DEP_1)
	v_dual_add_f32 v54, v145, v54 :: v_dual_mul_f32 v145, 0x3f3d2fb0, v177
	v_fmamk_f32 v146, v171, 0xbf2c7751, v145
	s_delay_alu instid0(VALU_DEP_1) | instskip(NEXT) | instid1(VALU_DEP_1)
	v_dual_add_f32 v53, v146, v53 :: v_dual_mul_f32 v146, 0xbf4c4adb, v178
	v_fmamk_f32 v147, v37, 0xbf1a4643, v146
	s_delay_alu instid0(VALU_DEP_1) | instskip(SKIP_1) | instid1(VALU_DEP_2)
	v_dual_add_f32 v54, v147, v54 :: v_dual_mul_f32 v147, 0xbf1a4643, v176
	v_fmac_f32_e32 v145, 0x3f2c7751, v171
	v_fmamk_f32 v148, v36, 0x3f4c4adb, v147
	s_delay_alu instid0(VALU_DEP_1) | instskip(NEXT) | instid1(VALU_DEP_1)
	v_dual_add_f32 v53, v148, v53 :: v_dual_mul_f32 v148, 0x3f65296c, v167
	v_fmamk_f32 v149, v162, 0x3ee437d1, v148
	s_delay_alu instid0(VALU_DEP_1) | instskip(SKIP_1) | instid1(VALU_DEP_2)
	v_dual_add_f32 v54, v149, v54 :: v_dual_fmamk_f32 v149, v40, 0xbf65296c, v41
	v_fmac_f32_e32 v41, 0x3f65296c, v40
	v_add_f32_e32 v53, v149, v53
	v_mul_f32_e32 v149, 0xbf763a35, v174
	s_delay_alu instid0(VALU_DEP_1) | instskip(SKIP_1) | instid1(VALU_DEP_2)
	v_fmamk_f32 v150, v170, 0xbe8c1d8e, v149
	v_fma_f32 v40, 0xbe8c1d8e, v170, -v149
	v_add_f32_e32 v54, v150, v54
	v_mul_f32_e32 v150, 0xbe8c1d8e, v175
	s_delay_alu instid0(VALU_DEP_1) | instskip(NEXT) | instid1(VALU_DEP_1)
	v_fmamk_f32 v151, v42, 0x3f763a35, v150
	v_dual_fmac_f32 v150, 0xbf763a35, v42 :: v_dual_add_f32 v151, v151, v53
	v_fma_f32 v63, 0x3dbcf732, v172, -v66
	s_delay_alu instid0(VALU_DEP_1) | instskip(SKIP_1) | instid1(VALU_DEP_2)
	v_dual_add_f32 v38, v63, v38 :: v_dual_fmac_f32 v79, 0x3eb8f4ab, v39
	v_fma_f32 v39, 0xbf59a7d5, v172, -v80
	v_add_f32_e32 v51, v79, v51
	s_delay_alu instid0(VALU_DEP_2) | instskip(NEXT) | instid1(VALU_DEP_2)
	v_add_f32_e32 v39, v39, v52
	v_add_f32_e32 v47, v81, v51
	v_fma_f32 v51, 0x3f3d2fb0, v43, -v82
	v_fma_f32 v43, 0xbf1a4643, v43, -v68
	s_delay_alu instid0(VALU_DEP_3) | instskip(NEXT) | instid1(VALU_DEP_3)
	v_add_f32_e32 v47, v145, v47
	v_add_f32_e32 v39, v51, v39
	s_delay_alu instid0(VALU_DEP_3) | instskip(SKIP_2) | instid1(VALU_DEP_2)
	v_add_f32_e32 v38, v43, v38
	v_fmamk_f32 v53, v187, 0x3dbcf732, v152
	v_add_f32_e32 v43, v69, v46
	v_dual_add_f32 v53, v53, v54 :: v_dual_fmamk_f32 v54, v186, 0xbf7ee86f, v153
	s_delay_alu instid0(VALU_DEP_1) | instskip(SKIP_3) | instid1(VALU_DEP_2)
	v_dual_fmac_f32 v153, 0x3f7ee86f, v186 :: v_dual_add_f32 v54, v54, v151
	v_fmac_f32_e32 v147, 0xbf4c4adb, v36
	v_fma_f32 v46, 0xbf1a4643, v37, -v146
	v_fma_f32 v37, 0x3f6eb680, v37, -v70
	v_add_f32_e32 v36, v46, v39
	s_delay_alu instid0(VALU_DEP_4) | instskip(NEXT) | instid1(VALU_DEP_3)
	v_add_f32_e32 v39, v147, v47
	v_dual_add_f32 v37, v37, v38 :: v_dual_add_f32 v38, v71, v43
	v_fma_f32 v43, 0x3ee437d1, v162, -v148
	v_fma_f32 v46, 0xbf7ba420, v162, -v72
	s_delay_alu instid0(VALU_DEP_4) | instskip(SKIP_2) | instid1(VALU_DEP_4)
	v_add_f32_e32 v39, v41, v39
	v_fma_f32 v41, 0x3f3d2fb0, v170, -v74
	v_add_f32_e32 v38, v73, v38
	v_dual_add_f32 v36, v43, v36 :: v_dual_add_f32 v37, v46, v37
	s_delay_alu instid0(VALU_DEP_4) | instskip(NEXT) | instid1(VALU_DEP_2)
	v_dual_add_f32 v39, v150, v39 :: v_dual_fmac_f32 v78, 0xbf763a35, v186
	v_add_f32_e32 v36, v40, v36
	s_delay_alu instid0(VALU_DEP_3) | instskip(SKIP_3) | instid1(VALU_DEP_3)
	v_add_f32_e32 v40, v41, v37
	v_fma_f32 v37, 0x3dbcf732, v187, -v152
	v_add_f32_e32 v41, v75, v38
	v_fma_f32 v38, 0xbe8c1d8e, v187, -v77
	v_add_f32_e32 v36, v37, v36
	s_delay_alu instid0(VALU_DEP_2) | instskip(NEXT) | instid1(VALU_DEP_4)
	v_dual_add_f32 v37, v153, v39 :: v_dual_add_f32 v38, v38, v40
	v_add_f32_e32 v39, v78, v41
	ds_store_2addr_b64 v144, v[32:33], v[34:35] offset1:1
	ds_store_2addr_b64 v144, v[44:45], v[163:164] offset0:2 offset1:3
	ds_store_2addr_b64 v144, v[168:169], v[139:140] offset0:4 offset1:5
	;; [unrolled: 1-line block ×7, first 2 shown]
	ds_store_b64 v144, v[117:118] offset:128
	v_add_nc_u32_e32 v36, 0x1400, v142
	s_waitcnt lgkmcnt(0)
	s_barrier
	buffer_gl0_inv
	ds_load_2addr_b64 v[44:47], v142 offset1:68
	ds_load_2addr_b64 v[56:59], v49 offset0:66 offset1:134
	ds_load_2addr_b64 v[32:35], v142 offset0:136 offset1:204
	v_add_nc_u32_e32 v49, 0x1c00, v142
	ds_load_2addr_b64 v[60:63], v36 offset0:74 offset1:142
	ds_load_2addr_b64 v[40:43], v48 offset0:16 offset1:84
	;; [unrolled: 1-line block ×5, first 2 shown]
	s_and_saveexec_b32 s0, vcc_lo
	s_cbranch_execz .LBB0_11
; %bb.10:
	ds_load_b64 v[117:118], v142 offset:4352
	ds_load_b64 v[137:138], v142 offset:8976
.LBB0_11:
	s_or_b32 exec_lo, exec_lo, s0
	s_waitcnt lgkmcnt(6)
	v_dual_mul_f32 v65, v106, v57 :: v_dual_mul_f32 v68, v104, v58
	v_dual_mul_f32 v66, v106, v56 :: v_dual_mul_f32 v67, v104, v59
	s_waitcnt lgkmcnt(0)
	s_delay_alu instid0(VALU_DEP_2) | instskip(SKIP_1) | instid1(VALU_DEP_2)
	v_fmac_f32_e32 v65, v105, v56
	s_barrier
	v_fma_f32 v56, v105, v57, -v66
	v_dual_mul_f32 v66, v100, v63 :: v_dual_fmac_f32 v67, v103, v58
	v_mul_f32_e32 v57, v102, v61
	v_fma_f32 v58, v103, v59, -v68
	v_dual_mul_f32 v68, v100, v62 :: v_dual_mul_f32 v59, v102, v60
	s_delay_alu instid0(VALU_DEP_4) | instskip(SKIP_2) | instid1(VALU_DEP_4)
	v_fmac_f32_e32 v66, v99, v62
	v_mul_f32_e32 v62, v116, v52
	v_dual_fmac_f32 v57, v101, v60 :: v_dual_mul_f32 v60, v116, v53
	v_fma_f32 v59, v101, v61, -v59
	v_fma_f32 v61, v99, v63, -v68
	v_mul_f32_e32 v63, v114, v55
	v_fma_f32 v62, v115, v53, -v62
	v_dual_mul_f32 v53, v112, v48 :: v_dual_mul_f32 v70, v110, v51
	v_mul_f32_e32 v68, v112, v49
	buffer_gl0_inv
	v_mul_f32_e32 v72, v108, v138
	v_fma_f32 v71, v111, v49, -v53
	v_dual_mul_f32 v49, v110, v50 :: v_dual_fmac_f32 v68, v111, v48
	v_dual_sub_f32 v53, v33, v59 :: v_dual_sub_f32 v48, v44, v65
	v_sub_f32_e32 v59, v41, v62
	s_delay_alu instid0(VALU_DEP_3) | instskip(SKIP_3) | instid1(VALU_DEP_4)
	v_fma_f32 v65, v109, v51, -v49
	v_sub_f32_e32 v49, v45, v56
	v_dual_fmac_f32 v60, v115, v52 :: v_dual_fmac_f32 v63, v113, v54
	v_fma_f32 v44, v44, 2.0, -v48
	v_sub_f32_e32 v100, v39, v65
	scratch_load_b32 v65, off, off offset:100 ; 4-byte Folded Reload
	v_fma_f32 v45, v45, 2.0, -v49
	v_mul_f32_e32 v52, v114, v54
	v_fmac_f32_e32 v70, v109, v50
	v_sub_f32_e32 v51, v47, v58
	v_sub_f32_e32 v56, v34, v66
	v_fma_f32 v41, v41, 2.0, -v59
	v_fma_f32 v69, v113, v55, -v52
	v_mul_f32_e32 v52, v108, v137
	v_sub_f32_e32 v50, v46, v67
	v_fma_f32 v47, v47, 2.0, -v51
	v_fma_f32 v55, v33, 2.0, -v53
	;; [unrolled: 1-line block ×3, first 2 shown]
	v_fma_f32 v73, v107, v138, -v52
	v_sub_f32_e32 v52, v32, v57
	v_sub_f32_e32 v57, v35, v61
	;; [unrolled: 1-line block ×4, first 2 shown]
	v_fma_f32 v46, v46, 2.0, -v50
	v_fma_f32 v54, v32, 2.0, -v52
	;; [unrolled: 1-line block ×3, first 2 shown]
	v_dual_sub_f32 v58, v40, v60 :: v_dual_sub_f32 v33, v118, v73
	v_sub_f32_e32 v60, v42, v63
	v_fma_f32 v43, v43, 2.0, -v61
	v_dual_fmac_f32 v72, v107, v137 :: v_dual_sub_f32 v63, v37, v71
	s_delay_alu instid0(VALU_DEP_4) | instskip(NEXT) | instid1(VALU_DEP_4)
	v_fma_f32 v40, v40, 2.0, -v58
	v_fma_f32 v42, v42, 2.0, -v60
	v_sub_f32_e32 v62, v36, v68
	v_fma_f32 v38, v38, 2.0, -v99
	v_fma_f32 v37, v37, 2.0, -v63
	;; [unrolled: 1-line block ×3, first 2 shown]
	v_sub_f32_e32 v32, v117, v72
	v_fma_f32 v36, v36, 2.0, -v62
	s_waitcnt vmcnt(0)
	ds_store_2addr_b64 v65, v[44:45], v[48:49] offset1:17
	scratch_load_b32 v44, off, off offset:108 ; 4-byte Folded Reload
	s_waitcnt vmcnt(0)
	ds_store_2addr_b64 v44, v[46:47], v[50:51] offset1:17
	scratch_load_b32 v44, off, off offset:104 ; 4-byte Folded Reload
	;; [unrolled: 3-line block ×7, first 2 shown]
	s_waitcnt vmcnt(0)
	ds_store_2addr_b64 v34, v[38:39], v[99:100] offset1:17
	s_and_saveexec_b32 s0, vcc_lo
	s_cbranch_execz .LBB0_13
; %bb.12:
	s_clause 0x1
	scratch_load_b32 v34, off, off offset:72
	scratch_load_b32 v35, off, off offset:76
	s_waitcnt vmcnt(0)
	v_mad_u16 v34, v34, 34, v35
	v_fma_f32 v35, v118, 2.0, -v33
	s_delay_alu instid0(VALU_DEP_2) | instskip(SKIP_1) | instid1(VALU_DEP_2)
	v_and_b32_e32 v36, 0xffff, v34
	v_fma_f32 v34, v117, 2.0, -v32
	v_lshl_add_u32 v36, v36, 3, v143
	ds_store_2addr_b64 v36, v[34:35], v[32:33] offset1:17
.LBB0_13:
	s_or_b32 exec_lo, exec_lo, s0
	s_waitcnt lgkmcnt(0)
	s_barrier
	buffer_gl0_inv
	ds_load_2addr_b64 v[39:42], v142 offset1:68
	ds_load_2addr_b64 v[43:46], v142 offset0:136 offset1:204
	v_add_nc_u32_e32 v36, 0x800, v142
	v_add_nc_u32_e32 v38, 0x1000, v142
	s_waitcnt lgkmcnt(1)
	v_mul_f32_e32 v35, v1, v42
	v_mul_f32_e32 v1, v1, v41
	ds_load_2addr_b64 v[47:50], v36 offset0:16 offset1:84
	v_add_nc_u32_e32 v37, 0x1800, v142
	s_waitcnt lgkmcnt(1)
	v_mul_f32_e32 v63, v3, v44
	v_mul_f32_e32 v3, v3, v43
	s_waitcnt lgkmcnt(0)
	v_mul_f32_e32 v34, v31, v48
	ds_load_b64 v[107:108], v142 offset:8704
	ds_load_2addr_b64 v[51:54], v36 offset0:152 offset1:220
	ds_load_2addr_b64 v[55:58], v38 offset0:32 offset1:100
	;; [unrolled: 1-line block ×5, first 2 shown]
	v_mul_f32_e32 v65, v29, v46
	v_mul_f32_e32 v29, v29, v45
	v_fmac_f32_e32 v63, v2, v43
	v_dual_fmac_f32 v34, v30, v47 :: v_dual_fmac_f32 v35, v0, v41
	v_fma_f32 v0, v0, v42, -v1
	v_fma_f32 v41, v2, v44, -v3
	v_dual_mul_f32 v1, v31, v47 :: v_dual_mul_f32 v2, v25, v49
	v_fmac_f32_e32 v65, v28, v45
	v_fma_f32 v42, v28, v46, -v29
	v_add_f32_e32 v3, v40, v0
	v_mul_f32_e32 v29, v25, v50
	v_fma_f32 v30, v30, v48, -v1
	s_waitcnt lgkmcnt(0)
	v_mul_f32_e32 v28, v27, v52
	v_mul_f32_e32 v1, v27, v51
	v_fma_f32 v27, v24, v50, -v2
	v_mul_f32_e32 v2, v5, v53
	s_barrier
	v_fmac_f32_e32 v28, v26, v51
	buffer_gl0_inv
	v_fma_f32 v25, v4, v54, -v2
	v_dual_mul_f32 v2, v7, v56 :: v_dual_fmac_f32 v29, v24, v49
	v_dual_mul_f32 v24, v5, v54 :: v_dual_mul_f32 v5, v7, v55
	s_delay_alu instid0(VALU_DEP_2) | instskip(NEXT) | instid1(VALU_DEP_2)
	v_fmac_f32_e32 v2, v6, v55
	v_fmac_f32_e32 v24, v4, v53
	v_dual_add_f32 v4, v3, v41 :: v_dual_mul_f32 v3, v17, v58
	s_delay_alu instid0(VALU_DEP_1) | instskip(SKIP_2) | instid1(VALU_DEP_4)
	v_add_f32_e32 v7, v4, v42
	v_fma_f32 v4, v6, v56, -v5
	v_dual_mul_f32 v5, v17, v57 :: v_dual_mul_f32 v6, v19, v60
	v_fmac_f32_e32 v3, v16, v57
	s_delay_alu instid0(VALU_DEP_4) | instskip(SKIP_1) | instid1(VALU_DEP_4)
	v_add_f32_e32 v7, v7, v30
	v_mul_f32_e32 v17, v19, v59
	v_fma_f32 v5, v16, v58, -v5
	v_mul_f32_e32 v16, v9, v62
	v_fma_f32 v26, v26, v52, -v1
	v_add_f32_e32 v19, v7, v27
	v_fma_f32 v7, v18, v60, -v17
	v_add_f32_e32 v1, v39, v35
	v_fmac_f32_e32 v6, v18, v59
	s_delay_alu instid0(VALU_DEP_4) | instskip(SKIP_1) | instid1(VALU_DEP_4)
	v_dual_mul_f32 v18, v9, v61 :: v_dual_add_f32 v17, v19, v26
	v_mul_f32_e32 v9, v11, v100
	v_dual_add_f32 v1, v1, v63 :: v_dual_fmac_f32 v16, v8, v61
	s_delay_alu instid0(VALU_DEP_3) | instskip(NEXT) | instid1(VALU_DEP_4)
	v_fma_f32 v8, v8, v62, -v18
	v_add_f32_e32 v17, v17, v25
	v_dual_mul_f32 v11, v11, v99 :: v_dual_mul_f32 v18, v21, v102
	v_mul_f32_e32 v19, v21, v101
	v_add_f32_e32 v1, v1, v65
	s_delay_alu instid0(VALU_DEP_4) | instskip(SKIP_3) | instid1(VALU_DEP_4)
	v_add_f32_e32 v17, v17, v4
	v_fmac_f32_e32 v9, v10, v99
	v_fma_f32 v10, v10, v100, -v11
	v_dual_fmac_f32 v18, v20, v101 :: v_dual_mul_f32 v21, v13, v106
	v_add_f32_e32 v11, v17, v5
	v_fma_f32 v17, v20, v102, -v19
	v_mul_f32_e32 v19, v23, v104
	v_dual_mul_f32 v20, v23, v103 :: v_dual_add_f32 v1, v1, v34
	v_mul_f32_e32 v13, v13, v105
	v_fmac_f32_e32 v21, v12, v105
	s_delay_alu instid0(VALU_DEP_4) | instskip(NEXT) | instid1(VALU_DEP_4)
	v_fmac_f32_e32 v19, v22, v103
	v_fma_f32 v20, v22, v104, -v20
	v_mul_f32_e32 v22, v15, v107
	v_mul_f32_e32 v15, v15, v108
	v_fma_f32 v12, v12, v106, -v13
	s_delay_alu instid0(VALU_DEP_3) | instskip(NEXT) | instid1(VALU_DEP_3)
	v_fma_f32 v22, v14, v108, -v22
	v_fmac_f32_e32 v15, v14, v107
	s_delay_alu instid0(VALU_DEP_3) | instskip(NEXT) | instid1(VALU_DEP_2)
	v_sub_f32_e32 v71, v41, v12
	v_dual_sub_f32 v13, v0, v22 :: v_dual_add_f32 v14, v35, v15
	v_add_f32_e32 v1, v1, v29
	s_delay_alu instid0(VALU_DEP_2) | instskip(NEXT) | instid1(VALU_DEP_2)
	v_dual_add_f32 v23, v0, v22 :: v_dual_mul_f32 v46, 0xbf65296c, v13
	v_dual_mul_f32 v54, 0xbf763a35, v13 :: v_dual_add_f32 v1, v1, v28
	s_delay_alu instid0(VALU_DEP_2) | instskip(SKIP_2) | instid1(VALU_DEP_4)
	v_mul_f32_e32 v48, 0x3ee437d1, v23
	v_mul_f32_e32 v52, 0x3dbcf732, v23
	;; [unrolled: 1-line block ×3, first 2 shown]
	v_dual_fmamk_f32 v56, v14, 0xbe8c1d8e, v54 :: v_dual_add_f32 v1, v1, v24
	v_add_f32_e32 v11, v11, v7
	v_mul_f32_e32 v60, 0xbf1a4643, v23
	v_fma_f32 v54, 0xbe8c1d8e, v14, -v54
	v_mul_f32_e32 v67, 0xbf59a7d5, v23
	v_add_f32_e32 v1, v1, v2
	v_dual_add_f32 v11, v11, v8 :: v_dual_fmamk_f32 v68, v14, 0xbf59a7d5, v66
	s_delay_alu instid0(VALU_DEP_4) | instskip(SKIP_1) | instid1(VALU_DEP_4)
	v_add_f32_e32 v54, v39, v54
	v_fma_f32 v66, 0xbf59a7d5, v14, -v66
	v_add_f32_e32 v1, v1, v3
	s_delay_alu instid0(VALU_DEP_4) | instskip(SKIP_2) | instid1(VALU_DEP_4)
	v_add_f32_e32 v11, v11, v10
	v_dual_add_f32 v68, v39, v68 :: v_dual_mul_f32 v45, 0x3f3d2fb0, v23
	v_fmamk_f32 v49, v14, 0x3ee437d1, v46
	v_add_f32_e32 v1, v1, v6
	s_delay_alu instid0(VALU_DEP_4)
	v_add_f32_e32 v11, v11, v17
	v_add_f32_e32 v66, v39, v66
	;; [unrolled: 1-line block ×3, first 2 shown]
	v_fma_f32 v46, 0x3ee437d1, v14, -v46
	v_add_f32_e32 v1, v1, v16
	v_add_f32_e32 v11, v11, v20
	s_delay_alu instid0(VALU_DEP_2) | instskip(NEXT) | instid1(VALU_DEP_1)
	v_dual_add_f32 v46, v39, v46 :: v_dual_add_f32 v1, v1, v9
	v_add_f32_e32 v1, v1, v18
	s_delay_alu instid0(VALU_DEP_1) | instskip(NEXT) | instid1(VALU_DEP_1)
	v_add_f32_e32 v1, v1, v19
	v_dual_add_f32 v0, v1, v21 :: v_dual_add_f32 v1, v11, v12
	v_dual_add_f32 v12, v41, v12 :: v_dual_sub_f32 v11, v35, v15
	v_mul_f32_e32 v35, 0x3f6eb680, v23
	s_delay_alu instid0(VALU_DEP_3) | instskip(SKIP_1) | instid1(VALU_DEP_4)
	v_dual_add_f32 v0, v0, v15 :: v_dual_add_f32 v1, v1, v22
	v_mul_f32_e32 v41, 0xbf2c7751, v71
	v_fmamk_f32 v69, v11, 0x3f06c442, v67
	v_fmamk_f32 v50, v11, 0x3f65296c, v48
	v_fmac_f32_e32 v48, 0xbf65296c, v11
	v_fmamk_f32 v62, v11, 0x3f4c4adb, v60
	s_delay_alu instid0(VALU_DEP_4) | instskip(SKIP_1) | instid1(VALU_DEP_4)
	v_dual_fmac_f32 v60, 0xbf4c4adb, v11 :: v_dual_add_f32 v69, v40, v69
	v_mul_f32_e32 v57, 0xbe8c1d8e, v23
	v_dual_mul_f32 v23, 0xbf7ba420, v23 :: v_dual_add_f32 v48, v40, v48
	s_delay_alu instid0(VALU_DEP_3) | instskip(SKIP_1) | instid1(VALU_DEP_3)
	v_dual_fmamk_f32 v55, v11, 0x3f7ee86f, v52 :: v_dual_add_f32 v60, v40, v60
	v_fmamk_f32 v22, v11, 0x3eb8f4ab, v35
	v_fmamk_f32 v72, v11, 0x3e3c28d5, v23
	v_mul_f32_e32 v31, 0xbeb8f4ab, v13
	v_mul_f32_e32 v15, 0xbf2c7751, v13
	;; [unrolled: 1-line block ×5, first 2 shown]
	v_add_f32_e32 v55, v40, v55
	v_fmamk_f32 v47, v11, 0x3f2c7751, v45
	v_fmac_f32_e32 v45, 0xbf2c7751, v11
	v_fmac_f32_e32 v23, 0xbe3c28d5, v11
	v_fmamk_f32 v70, v14, 0xbf7ba420, v13
	v_fmamk_f32 v44, v14, 0x3f3d2fb0, v15
	v_fma_f32 v15, 0x3f3d2fb0, v14, -v15
	v_dual_add_f32 v45, v40, v45 :: v_dual_fmac_f32 v52, 0xbf7ee86f, v11
	v_fmamk_f32 v59, v11, 0x3f763a35, v57
	v_fmac_f32_e32 v57, 0xbf763a35, v11
	v_fmamk_f32 v61, v14, 0xbf1a4643, v58
	v_fma_f32 v58, 0xbf1a4643, v14, -v58
	v_dual_fmac_f32 v67, 0xbf06c442, v11 :: v_dual_add_f32 v70, v39, v70
	v_fmamk_f32 v43, v14, 0x3f6eb680, v31
	v_fma_f32 v31, 0x3f6eb680, v14, -v31
	v_fma_f32 v13, 0xbf7ba420, v14, -v13
	v_add_f32_e32 v23, v40, v23
	v_fmamk_f32 v53, v14, 0x3dbcf732, v51
	v_fma_f32 v51, 0x3dbcf732, v14, -v51
	v_add_f32_e32 v14, v63, v21
	v_add_f32_e32 v49, v39, v49
	v_fmac_f32_e32 v35, 0xbeb8f4ab, v11
	v_sub_f32_e32 v11, v63, v21
	v_mul_f32_e32 v21, 0x3f3d2fb0, v12
	v_dual_add_f32 v43, v39, v43 :: v_dual_add_f32 v22, v40, v22
	v_add_f32_e32 v31, v39, v31
	v_dual_add_f32 v35, v40, v35 :: v_dual_add_f32 v44, v39, v44
	v_add_f32_e32 v47, v40, v47
	v_dual_add_f32 v50, v40, v50 :: v_dual_add_f32 v53, v39, v53
	v_dual_add_f32 v51, v39, v51 :: v_dual_add_f32 v52, v40, v52
	v_add_f32_e32 v59, v40, v59
	v_add_f32_e32 v57, v40, v57
	;; [unrolled: 1-line block ×3, first 2 shown]
	v_dual_add_f32 v15, v39, v15 :: v_dual_add_f32 v62, v40, v62
	v_dual_add_f32 v58, v39, v58 :: v_dual_add_f32 v67, v40, v67
	v_add_f32_e32 v63, v40, v72
	v_add_f32_e32 v13, v39, v13
	v_fmamk_f32 v39, v11, 0x3f2c7751, v21
	v_mul_f32_e32 v40, 0xbf7ee86f, v71
	v_fmac_f32_e32 v21, 0xbf2c7751, v11
	v_fmamk_f32 v72, v14, 0x3f3d2fb0, v41
	v_fma_f32 v41, 0x3f3d2fb0, v14, -v41
	s_delay_alu instid0(VALU_DEP_4) | instskip(NEXT) | instid1(VALU_DEP_4)
	v_dual_add_f32 v22, v39, v22 :: v_dual_fmamk_f32 v39, v14, 0x3dbcf732, v40
	v_add_f32_e32 v21, v21, v35
	v_mul_f32_e32 v35, 0xbf4c4adb, v71
	s_delay_alu instid0(VALU_DEP_4) | instskip(SKIP_2) | instid1(VALU_DEP_4)
	v_add_f32_e32 v31, v41, v31
	v_fma_f32 v40, 0x3dbcf732, v14, -v40
	v_add_f32_e32 v39, v39, v44
	v_dual_mul_f32 v73, 0xbf1a4643, v12 :: v_dual_fmamk_f32 v44, v14, 0xbf1a4643, v35
	v_dual_add_f32 v43, v72, v43 :: v_dual_mul_f32 v72, 0x3dbcf732, v12
	s_delay_alu instid0(VALU_DEP_4) | instskip(SKIP_1) | instid1(VALU_DEP_4)
	v_add_f32_e32 v15, v40, v15
	v_fma_f32 v35, 0xbf1a4643, v14, -v35
	v_dual_add_f32 v44, v44, v49 :: v_dual_mul_f32 v49, 0xbf7ba420, v12
	s_delay_alu instid0(VALU_DEP_4) | instskip(NEXT) | instid1(VALU_DEP_3)
	v_fmamk_f32 v41, v11, 0x3f7ee86f, v72
	v_dual_fmac_f32 v72, 0xbf7ee86f, v11 :: v_dual_add_f32 v35, v35, v46
	s_delay_alu instid0(VALU_DEP_1) | instskip(SKIP_3) | instid1(VALU_DEP_3)
	v_dual_add_f32 v41, v41, v47 :: v_dual_add_f32 v40, v72, v45
	v_fmamk_f32 v45, v11, 0x3f4c4adb, v73
	v_mul_f32_e32 v47, 0xbe3c28d5, v71
	v_fmac_f32_e32 v73, 0xbf4c4adb, v11
	v_dual_mul_f32 v72, 0x3f06c442, v71 :: v_dual_add_f32 v45, v45, v50
	s_delay_alu instid0(VALU_DEP_3) | instskip(SKIP_1) | instid1(VALU_DEP_4)
	v_fmamk_f32 v50, v14, 0xbf7ba420, v47
	v_fma_f32 v47, 0xbf7ba420, v14, -v47
	v_add_f32_e32 v46, v73, v48
	v_fmamk_f32 v48, v11, 0x3e3c28d5, v49
	s_delay_alu instid0(VALU_DEP_4) | instskip(SKIP_3) | instid1(VALU_DEP_4)
	v_dual_fmac_f32 v49, 0xbe3c28d5, v11 :: v_dual_add_f32 v50, v50, v53
	v_fmamk_f32 v53, v14, 0xbf59a7d5, v72
	v_add_f32_e32 v47, v47, v51
	v_mul_f32_e32 v51, 0x3f763a35, v71
	v_add_f32_e32 v49, v49, v52
	v_mul_f32_e32 v73, 0xbe8c1d8e, v12
	v_add_f32_e32 v52, v53, v56
	v_fma_f32 v56, 0xbf59a7d5, v14, -v72
	v_fmamk_f32 v72, v14, 0xbe8c1d8e, v51
	v_fma_f32 v51, 0xbe8c1d8e, v14, -v51
	s_delay_alu instid0(VALU_DEP_3) | instskip(NEXT) | instid1(VALU_DEP_3)
	v_add_f32_e32 v54, v56, v54
	v_dual_add_f32 v56, v72, v61 :: v_dual_mul_f32 v61, 0x3ee437d1, v12
	s_delay_alu instid0(VALU_DEP_3) | instskip(NEXT) | instid1(VALU_DEP_2)
	v_add_f32_e32 v51, v51, v58
	v_fmamk_f32 v58, v11, 0xbf65296c, v61
	v_dual_add_f32 v48, v48, v55 :: v_dual_mul_f32 v55, 0xbf59a7d5, v12
	v_fmac_f32_e32 v61, 0x3f65296c, v11
	v_mul_f32_e32 v12, 0x3f6eb680, v12
	s_delay_alu instid0(VALU_DEP_3) | instskip(SKIP_1) | instid1(VALU_DEP_4)
	v_fmamk_f32 v53, v11, 0xbf06c442, v55
	v_fmac_f32_e32 v55, 0x3f06c442, v11
	v_add_f32_e32 v61, v61, v67
	s_delay_alu instid0(VALU_DEP_3) | instskip(NEXT) | instid1(VALU_DEP_3)
	v_add_f32_e32 v53, v53, v59
	v_add_f32_e32 v55, v55, v57
	v_fmamk_f32 v57, v11, 0xbf763a35, v73
	v_mul_f32_e32 v59, 0x3f65296c, v71
	v_mul_f32_e32 v71, 0x3eb8f4ab, v71
	v_fmac_f32_e32 v73, 0x3f763a35, v11
	s_delay_alu instid0(VALU_DEP_3) | instskip(SKIP_1) | instid1(VALU_DEP_3)
	v_dual_add_f32 v57, v57, v62 :: v_dual_fmamk_f32 v62, v14, 0x3ee437d1, v59
	v_fma_f32 v59, 0x3ee437d1, v14, -v59
	v_add_f32_e32 v60, v73, v60
	s_delay_alu instid0(VALU_DEP_3) | instskip(NEXT) | instid1(VALU_DEP_3)
	v_add_f32_e32 v62, v62, v68
	v_dual_fmamk_f32 v68, v14, 0x3f6eb680, v71 :: v_dual_add_f32 v59, v59, v66
	v_sub_f32_e32 v66, v42, v20
	v_add_f32_e32 v20, v42, v20
	v_fma_f32 v14, 0x3f6eb680, v14, -v71
	s_delay_alu instid0(VALU_DEP_4) | instskip(NEXT) | instid1(VALU_DEP_4)
	v_dual_add_f32 v67, v68, v70 :: v_dual_fmamk_f32 v68, v11, 0xbeb8f4ab, v12
	v_mul_f32_e32 v70, 0xbf65296c, v66
	s_delay_alu instid0(VALU_DEP_4)
	v_mul_f32_e32 v42, 0x3ee437d1, v20
	v_dual_add_f32 v58, v58, v69 :: v_dual_add_f32 v69, v65, v19
	v_fmac_f32_e32 v12, 0x3eb8f4ab, v11
	v_sub_f32_e32 v11, v65, v19
	v_add_f32_e32 v13, v14, v13
	v_mul_f32_e32 v65, 0xbf1a4643, v20
	v_fmamk_f32 v19, v69, 0x3ee437d1, v70
	s_delay_alu instid0(VALU_DEP_1) | instskip(SKIP_3) | instid1(VALU_DEP_3)
	v_add_f32_e32 v14, v19, v43
	v_fmamk_f32 v19, v11, 0x3f65296c, v42
	v_fmac_f32_e32 v42, 0xbf65296c, v11
	v_fma_f32 v43, 0x3ee437d1, v69, -v70
	v_add_f32_e32 v19, v19, v22
	s_delay_alu instid0(VALU_DEP_3)
	v_dual_add_f32 v21, v42, v21 :: v_dual_fmamk_f32 v42, v11, 0x3f4c4adb, v65
	v_dual_add_f32 v63, v68, v63 :: v_dual_mul_f32 v68, 0xbe8c1d8e, v20
	v_dual_add_f32 v12, v12, v23 :: v_dual_mul_f32 v23, 0xbf4c4adb, v66
	v_add_f32_e32 v31, v43, v31
	v_mul_f32_e32 v43, 0x3e3c28d5, v66
	v_fmac_f32_e32 v65, 0xbf4c4adb, v11
	s_delay_alu instid0(VALU_DEP_4) | instskip(SKIP_1) | instid1(VALU_DEP_2)
	v_fmamk_f32 v22, v69, 0xbf1a4643, v23
	v_fma_f32 v23, 0xbf1a4643, v69, -v23
	v_add_f32_e32 v22, v22, v39
	v_add_f32_e32 v39, v42, v41
	v_dual_fmamk_f32 v41, v69, 0xbf7ba420, v43 :: v_dual_mul_f32 v42, 0xbf7ba420, v20
	s_delay_alu instid0(VALU_DEP_4) | instskip(SKIP_1) | instid1(VALU_DEP_3)
	v_add_f32_e32 v15, v23, v15
	v_dual_add_f32 v23, v65, v40 :: v_dual_mul_f32 v40, 0x3f763a35, v66
	v_dual_add_f32 v41, v41, v44 :: v_dual_fmamk_f32 v44, v11, 0xbe3c28d5, v42
	v_fma_f32 v43, 0xbf7ba420, v69, -v43
	v_fmac_f32_e32 v42, 0x3e3c28d5, v11
	s_delay_alu instid0(VALU_DEP_4) | instskip(SKIP_1) | instid1(VALU_DEP_4)
	v_fmamk_f32 v65, v69, 0xbe8c1d8e, v40
	v_fma_f32 v40, 0xbe8c1d8e, v69, -v40
	v_dual_add_f32 v44, v44, v45 :: v_dual_add_f32 v35, v43, v35
	v_fmamk_f32 v45, v11, 0xbf763a35, v68
	s_delay_alu instid0(VALU_DEP_4)
	v_dual_add_f32 v43, v65, v50 :: v_dual_fmac_f32 v68, 0x3f763a35, v11
	v_mul_f32_e32 v50, 0x3f3d2fb0, v20
	v_add_f32_e32 v42, v42, v46
	v_mul_f32_e32 v46, 0x3f2c7751, v66
	v_add_f32_e32 v40, v40, v47
	v_add_f32_e32 v47, v68, v49
	v_fmamk_f32 v49, v11, 0xbf2c7751, v50
	v_add_f32_e32 v45, v45, v48
	v_fmamk_f32 v48, v69, 0x3f3d2fb0, v46
	v_mul_f32_e32 v65, 0xbeb8f4ab, v66
	v_fma_f32 v46, 0x3f3d2fb0, v69, -v46
	v_dual_fmac_f32 v50, 0x3f2c7751, v11 :: v_dual_add_f32 v49, v49, v53
	v_mul_f32_e32 v53, 0x3f6eb680, v20
	v_add_f32_e32 v48, v48, v52
	v_fmamk_f32 v52, v69, 0x3f6eb680, v65
	v_add_f32_e32 v46, v46, v54
	v_add_f32_e32 v50, v50, v55
	v_mul_f32_e32 v54, 0xbf7ee86f, v66
	v_fmamk_f32 v55, v11, 0x3eb8f4ab, v53
	v_mul_f32_e32 v68, 0x3dbcf732, v20
	v_add_f32_e32 v52, v52, v56
	v_fma_f32 v56, 0x3f6eb680, v69, -v65
	v_fmac_f32_e32 v53, 0xbeb8f4ab, v11
	v_fmamk_f32 v65, v69, 0x3dbcf732, v54
	v_add_f32_e32 v55, v55, v57
	v_fmamk_f32 v57, v11, 0x3f7ee86f, v68
	v_mul_f32_e32 v20, 0xbf59a7d5, v20
	v_fma_f32 v54, 0x3dbcf732, v69, -v54
	v_fmac_f32_e32 v68, 0xbf7ee86f, v11
	v_add_f32_e32 v51, v56, v51
	v_add_f32_e32 v53, v53, v60
	;; [unrolled: 1-line block ×3, first 2 shown]
	v_mul_f32_e32 v60, 0xbf06c442, v66
	v_fmamk_f32 v62, v11, 0x3f06c442, v20
	v_dual_add_f32 v54, v54, v59 :: v_dual_add_f32 v59, v68, v61
	v_sub_f32_e32 v61, v30, v17
	v_add_f32_e32 v17, v30, v17
	v_add_f32_e32 v57, v57, v58
	v_fmamk_f32 v58, v69, 0xbf59a7d5, v60
	v_add_f32_e32 v62, v62, v63
	v_dual_add_f32 v63, v34, v18 :: v_dual_mul_f32 v30, 0xbf7ee86f, v61
	v_fma_f32 v60, 0xbf59a7d5, v69, -v60
	v_dual_fmac_f32 v20, 0xbf06c442, v11 :: v_dual_sub_f32 v11, v34, v18
	v_mul_f32_e32 v18, 0x3dbcf732, v17
	s_delay_alu instid0(VALU_DEP_3) | instskip(NEXT) | instid1(VALU_DEP_3)
	v_dual_fmamk_f32 v34, v63, 0x3dbcf732, v30 :: v_dual_add_f32 v13, v60, v13
	v_add_f32_e32 v12, v20, v12
	v_mul_f32_e32 v20, 0xbe3c28d5, v61
	s_delay_alu instid0(VALU_DEP_4) | instskip(NEXT) | instid1(VALU_DEP_4)
	v_fmamk_f32 v60, v11, 0x3f7ee86f, v18
	v_add_f32_e32 v14, v34, v14
	v_fma_f32 v30, 0x3dbcf732, v63, -v30
	v_fmac_f32_e32 v18, 0xbf7ee86f, v11
	s_delay_alu instid0(VALU_DEP_4) | instskip(SKIP_1) | instid1(VALU_DEP_4)
	v_dual_fmamk_f32 v34, v63, 0xbf7ba420, v20 :: v_dual_add_f32 v19, v60, v19
	v_mul_f32_e32 v60, 0xbf7ba420, v17
	v_add_f32_e32 v30, v30, v31
	s_delay_alu instid0(VALU_DEP_4) | instskip(NEXT) | instid1(VALU_DEP_4)
	v_add_f32_e32 v18, v18, v21
	v_dual_add_f32 v21, v34, v22 :: v_dual_mul_f32 v22, 0x3f763a35, v61
	s_delay_alu instid0(VALU_DEP_4) | instskip(SKIP_2) | instid1(VALU_DEP_4)
	v_fmamk_f32 v31, v11, 0x3e3c28d5, v60
	v_fma_f32 v20, 0xbf7ba420, v63, -v20
	v_fmac_f32_e32 v60, 0xbe3c28d5, v11
	v_dual_mul_f32 v34, 0xbe8c1d8e, v17 :: v_dual_fmamk_f32 v65, v63, 0xbe8c1d8e, v22
	s_delay_alu instid0(VALU_DEP_4) | instskip(NEXT) | instid1(VALU_DEP_4)
	v_add_f32_e32 v31, v31, v39
	v_add_f32_e32 v15, v20, v15
	s_delay_alu instid0(VALU_DEP_3) | instskip(NEXT) | instid1(VALU_DEP_4)
	v_dual_add_f32 v20, v60, v23 :: v_dual_fmamk_f32 v23, v11, 0xbf763a35, v34
	v_add_f32_e32 v39, v65, v41
	v_mul_f32_e32 v41, 0x3eb8f4ab, v61
	v_fma_f32 v22, 0xbe8c1d8e, v63, -v22
	s_delay_alu instid0(VALU_DEP_4) | instskip(SKIP_1) | instid1(VALU_DEP_4)
	v_dual_fmac_f32 v34, 0x3f763a35, v11 :: v_dual_add_f32 v23, v23, v44
	v_mul_f32_e32 v44, 0x3f6eb680, v17
	v_fmamk_f32 v60, v63, 0x3f6eb680, v41
	s_delay_alu instid0(VALU_DEP_4) | instskip(NEXT) | instid1(VALU_DEP_4)
	v_add_f32_e32 v22, v22, v35
	v_dual_add_f32 v34, v34, v42 :: v_dual_mul_f32 v35, 0xbf65296c, v61
	s_delay_alu instid0(VALU_DEP_3) | instskip(SKIP_2) | instid1(VALU_DEP_4)
	v_dual_fmamk_f32 v42, v11, 0xbeb8f4ab, v44 :: v_dual_add_f32 v43, v60, v43
	v_fma_f32 v41, 0x3f6eb680, v63, -v41
	v_fmac_f32_e32 v44, 0x3eb8f4ab, v11
	v_fmamk_f32 v60, v63, 0x3ee437d1, v35
	s_delay_alu instid0(VALU_DEP_4) | instskip(NEXT) | instid1(VALU_DEP_4)
	v_add_f32_e32 v42, v42, v45
	v_dual_mul_f32 v45, 0x3ee437d1, v17 :: v_dual_add_f32 v40, v41, v40
	s_delay_alu instid0(VALU_DEP_4) | instskip(NEXT) | instid1(VALU_DEP_4)
	v_add_f32_e32 v41, v44, v47
	v_dual_add_f32 v44, v60, v48 :: v_dual_mul_f32 v47, 0xbf06c442, v61
	s_delay_alu instid0(VALU_DEP_3) | instskip(SKIP_2) | instid1(VALU_DEP_4)
	v_fmamk_f32 v48, v11, 0x3f65296c, v45
	v_fma_f32 v35, 0x3ee437d1, v63, -v35
	v_fmac_f32_e32 v45, 0xbf65296c, v11
	v_dual_mul_f32 v60, 0xbf59a7d5, v17 :: v_dual_fmamk_f32 v65, v63, 0xbf59a7d5, v47
	v_fma_f32 v47, 0xbf59a7d5, v63, -v47
	s_delay_alu instid0(VALU_DEP_4) | instskip(NEXT) | instid1(VALU_DEP_3)
	v_add_f32_e32 v35, v35, v46
	v_dual_add_f32 v45, v45, v50 :: v_dual_fmamk_f32 v46, v11, 0x3f06c442, v60
	v_mul_f32_e32 v50, 0x3f4c4adb, v61
	v_fmac_f32_e32 v60, 0xbf06c442, v11
	v_add_f32_e32 v47, v47, v51
	v_add_f32_e32 v58, v58, v67
	s_delay_alu instid0(VALU_DEP_4) | instskip(NEXT) | instid1(VALU_DEP_4)
	v_dual_add_f32 v46, v46, v55 :: v_dual_fmamk_f32 v55, v63, 0xbf1a4643, v50
	v_add_f32_e32 v51, v60, v53
	v_mul_f32_e32 v53, 0x3f2c7751, v61
	v_fma_f32 v50, 0xbf1a4643, v63, -v50
	s_delay_alu instid0(VALU_DEP_4) | instskip(NEXT) | instid1(VALU_DEP_3)
	v_dual_add_f32 v48, v48, v49 :: v_dual_add_f32 v55, v55, v56
	v_fmamk_f32 v56, v63, 0x3f3d2fb0, v53
	s_delay_alu instid0(VALU_DEP_3) | instskip(SKIP_1) | instid1(VALU_DEP_3)
	v_add_f32_e32 v50, v50, v54
	v_fma_f32 v53, 0x3f3d2fb0, v63, -v53
	v_add_f32_e32 v54, v56, v58
	v_sub_f32_e32 v56, v27, v10
	v_dual_add_f32 v10, v27, v10 :: v_dual_add_f32 v49, v65, v52
	v_mul_f32_e32 v52, 0xbf1a4643, v17
	v_mul_f32_e32 v17, 0x3f3d2fb0, v17
	v_add_f32_e32 v27, v29, v9
	v_sub_f32_e32 v9, v29, v9
	s_delay_alu instid0(VALU_DEP_4)
	v_dual_add_f32 v13, v53, v13 :: v_dual_fmamk_f32 v60, v11, 0xbf4c4adb, v52
	v_fmac_f32_e32 v52, 0x3f4c4adb, v11
	v_fmamk_f32 v58, v11, 0xbf2c7751, v17
	v_fmac_f32_e32 v17, 0x3f2c7751, v11
	v_mul_f32_e32 v11, 0xbe8c1d8e, v10
	v_dual_add_f32 v57, v60, v57 :: v_dual_mul_f32 v60, 0x3f3d2fb0, v10
	v_dual_add_f32 v52, v52, v59 :: v_dual_mul_f32 v59, 0xbf763a35, v56
	s_delay_alu instid0(VALU_DEP_4) | instskip(NEXT) | instid1(VALU_DEP_4)
	v_dual_add_f32 v29, v58, v62 :: v_dual_add_f32 v12, v17, v12
	v_fmamk_f32 v17, v9, 0x3f763a35, v11
	v_mul_f32_e32 v53, 0x3f06c442, v56
	s_delay_alu instid0(VALU_DEP_4) | instskip(SKIP_1) | instid1(VALU_DEP_4)
	v_fmamk_f32 v58, v27, 0xbe8c1d8e, v59
	v_fmac_f32_e32 v11, 0xbf763a35, v9
	v_add_f32_e32 v17, v17, v19
	s_delay_alu instid0(VALU_DEP_3) | instskip(SKIP_3) | instid1(VALU_DEP_3)
	v_dual_fmamk_f32 v19, v27, 0xbf59a7d5, v53 :: v_dual_add_f32 v14, v58, v14
	v_fma_f32 v58, 0xbe8c1d8e, v27, -v59
	v_mul_f32_e32 v59, 0xbf59a7d5, v10
	v_dual_add_f32 v11, v11, v18 :: v_dual_mul_f32 v18, 0x3f2c7751, v56
	v_dual_add_f32 v19, v19, v21 :: v_dual_add_f32 v30, v58, v30
	s_delay_alu instid0(VALU_DEP_3) | instskip(SKIP_1) | instid1(VALU_DEP_4)
	v_fmamk_f32 v21, v9, 0xbf06c442, v59
	v_fma_f32 v53, 0xbf59a7d5, v27, -v53
	v_fmamk_f32 v58, v27, 0x3f3d2fb0, v18
	v_fmac_f32_e32 v59, 0x3f06c442, v9
	v_fma_f32 v18, 0x3f3d2fb0, v27, -v18
	v_add_f32_e32 v21, v21, v31
	v_add_f32_e32 v15, v53, v15
	;; [unrolled: 1-line block ×3, first 2 shown]
	v_fmamk_f32 v39, v9, 0xbf2c7751, v60
	v_mul_f32_e32 v53, 0xbf65296c, v56
	v_fmac_f32_e32 v60, 0x3f2c7751, v9
	v_mul_f32_e32 v58, 0x3ee437d1, v10
	v_add_f32_e32 v20, v59, v20
	v_add_f32_e32 v23, v39, v23
	v_dual_fmamk_f32 v39, v27, 0x3ee437d1, v53 :: v_dual_add_f32 v18, v18, v22
	v_add_f32_e32 v22, v60, v34
	v_fmamk_f32 v34, v9, 0x3f65296c, v58
	v_mul_f32_e32 v59, 0xbe3c28d5, v56
	s_delay_alu instid0(VALU_DEP_4) | instskip(SKIP_4) | instid1(VALU_DEP_4)
	v_add_f32_e32 v39, v39, v43
	v_fma_f32 v43, 0x3ee437d1, v27, -v53
	v_fmac_f32_e32 v58, 0xbf65296c, v9
	v_add_f32_e32 v34, v34, v42
	v_dual_fmamk_f32 v42, v27, 0xbf7ba420, v59 :: v_dual_mul_f32 v53, 0xbf7ba420, v10
	v_add_f32_e32 v40, v43, v40
	v_mul_f32_e32 v43, 0x3f7ee86f, v56
	v_add_f32_e32 v41, v58, v41
	s_delay_alu instid0(VALU_DEP_4) | instskip(SKIP_4) | instid1(VALU_DEP_3)
	v_add_f32_e32 v42, v42, v44
	v_fmamk_f32 v44, v9, 0x3e3c28d5, v53
	v_fma_f32 v58, 0xbf7ba420, v27, -v59
	v_fmac_f32_e32 v53, 0xbe3c28d5, v9
	v_dual_fmamk_f32 v59, v27, 0x3dbcf732, v43 :: v_dual_mul_f32 v60, 0x3dbcf732, v10
	v_dual_add_f32 v44, v44, v48 :: v_dual_add_f32 v35, v58, v35
	s_delay_alu instid0(VALU_DEP_3)
	v_add_f32_e32 v45, v53, v45
	v_mul_f32_e32 v53, 0xbeb8f4ab, v56
	v_mul_f32_e32 v58, 0x3f6eb680, v10
	;; [unrolled: 1-line block ×3, first 2 shown]
	v_dual_add_f32 v48, v59, v49 :: v_dual_fmamk_f32 v49, v9, 0xbf7ee86f, v60
	v_fma_f32 v43, 0x3dbcf732, v27, -v43
	v_mul_f32_e32 v56, 0xbf4c4adb, v56
	v_fmac_f32_e32 v60, 0x3f7ee86f, v9
	s_delay_alu instid0(VALU_DEP_4) | instskip(SKIP_3) | instid1(VALU_DEP_4)
	v_dual_add_f32 v46, v49, v46 :: v_dual_fmamk_f32 v49, v27, 0x3f6eb680, v53
	v_fma_f32 v53, 0x3f6eb680, v27, -v53
	v_add_f32_e32 v43, v43, v47
	v_fmamk_f32 v47, v9, 0x3eb8f4ab, v58
	v_dual_fmac_f32 v58, 0xbeb8f4ab, v9 :: v_dual_add_f32 v49, v49, v55
	s_delay_alu instid0(VALU_DEP_4) | instskip(NEXT) | instid1(VALU_DEP_3)
	v_dual_add_f32 v50, v53, v50 :: v_dual_sub_f32 v53, v26, v8
	v_add_f32_e32 v47, v47, v57
	s_delay_alu instid0(VALU_DEP_3) | instskip(NEXT) | instid1(VALU_DEP_3)
	v_dual_fmamk_f32 v55, v27, 0xbf1a4643, v56 :: v_dual_add_f32 v52, v58, v52
	v_dual_add_f32 v57, v28, v16 :: v_dual_mul_f32 v58, 0xbf4c4adb, v53
	v_add_f32_e32 v8, v26, v8
	v_fma_f32 v26, 0xbf1a4643, v27, -v56
	s_delay_alu instid0(VALU_DEP_4) | instskip(SKIP_1) | instid1(VALU_DEP_4)
	v_dual_add_f32 v54, v55, v54 :: v_dual_fmamk_f32 v55, v9, 0x3f4c4adb, v10
	v_dual_fmac_f32 v10, 0xbf4c4adb, v9 :: v_dual_sub_f32 v9, v28, v16
	v_dual_fmamk_f32 v16, v57, 0xbf1a4643, v58 :: v_dual_mul_f32 v27, 0xbf1a4643, v8
	s_delay_alu instid0(VALU_DEP_4) | instskip(SKIP_1) | instid1(VALU_DEP_4)
	v_add_f32_e32 v13, v26, v13
	v_fma_f32 v26, 0xbf1a4643, v57, -v58
	v_add_f32_e32 v10, v10, v12
	s_delay_alu instid0(VALU_DEP_4)
	v_add_f32_e32 v12, v16, v14
	v_fmamk_f32 v14, v9, 0x3f4c4adb, v27
	v_mul_f32_e32 v16, 0x3f763a35, v53
	v_dual_fmac_f32 v27, 0xbf4c4adb, v9 :: v_dual_add_f32 v26, v26, v30
	v_mul_f32_e32 v30, 0xbeb8f4ab, v53
	v_dual_add_f32 v28, v55, v29 :: v_dual_mul_f32 v29, 0xbe8c1d8e, v8
	s_delay_alu instid0(VALU_DEP_4) | instskip(NEXT) | instid1(VALU_DEP_4)
	v_dual_add_f32 v14, v14, v17 :: v_dual_fmamk_f32 v17, v57, 0xbe8c1d8e, v16
	v_add_f32_e32 v11, v27, v11
	v_fma_f32 v16, 0xbe8c1d8e, v57, -v16
	s_delay_alu instid0(VALU_DEP_4)
	v_fmamk_f32 v27, v9, 0xbf763a35, v29
	v_fmac_f32_e32 v29, 0x3f763a35, v9
	v_add_f32_e32 v17, v17, v19
	v_mul_f32_e32 v55, 0xbf59a7d5, v8
	v_add_f32_e32 v15, v16, v15
	v_add_f32_e32 v19, v27, v21
	v_fmamk_f32 v21, v57, 0x3f6eb680, v30
	v_mul_f32_e32 v27, 0x3f6eb680, v8
	v_add_f32_e32 v16, v29, v20
	v_mul_f32_e32 v20, 0xbf06c442, v53
	v_fma_f32 v30, 0x3f6eb680, v57, -v30
	v_add_f32_e32 v21, v21, v31
	v_fmamk_f32 v29, v9, 0x3eb8f4ab, v27
	v_fmac_f32_e32 v27, 0xbeb8f4ab, v9
	v_fmamk_f32 v31, v57, 0xbf59a7d5, v20
	v_fma_f32 v20, 0xbf59a7d5, v57, -v20
	v_add_f32_e32 v18, v30, v18
	v_mul_f32_e32 v30, 0x3f7ee86f, v53
	v_add_f32_e32 v22, v27, v22
	v_add_f32_e32 v27, v31, v39
	v_mul_f32_e32 v31, 0x3dbcf732, v8
	v_add_f32_e32 v20, v20, v40
	s_delay_alu instid0(VALU_DEP_2) | instskip(SKIP_3) | instid1(VALU_DEP_4)
	v_dual_add_f32 v51, v60, v51 :: v_dual_fmamk_f32 v40, v9, 0xbf7ee86f, v31
	v_add_f32_e32 v23, v29, v23
	v_fmamk_f32 v29, v9, 0x3f06c442, v55
	v_fmac_f32_e32 v55, 0xbf06c442, v9
	v_dual_fmac_f32 v31, 0x3f7ee86f, v9 :: v_dual_add_f32 v40, v40, v44
	s_delay_alu instid0(VALU_DEP_3) | instskip(NEXT) | instid1(VALU_DEP_3)
	v_dual_mul_f32 v44, 0x3f3d2fb0, v8 :: v_dual_add_f32 v29, v29, v34
	v_dual_fmamk_f32 v34, v57, 0x3dbcf732, v30 :: v_dual_add_f32 v39, v55, v41
	v_mul_f32_e32 v41, 0xbf2c7751, v53
	v_fma_f32 v30, 0x3dbcf732, v57, -v30
	s_delay_alu instid0(VALU_DEP_3) | instskip(SKIP_1) | instid1(VALU_DEP_4)
	v_dual_add_f32 v31, v31, v45 :: v_dual_add_f32 v34, v34, v42
	v_fmamk_f32 v45, v9, 0x3f2c7751, v44
	v_fmamk_f32 v42, v57, 0x3f3d2fb0, v41
	s_delay_alu instid0(VALU_DEP_4) | instskip(SKIP_2) | instid1(VALU_DEP_4)
	v_dual_add_f32 v30, v30, v35 :: v_dual_mul_f32 v35, 0xbe3c28d5, v53
	v_fma_f32 v41, 0x3f3d2fb0, v57, -v41
	v_fmac_f32_e32 v44, 0xbf2c7751, v9
	v_add_f32_e32 v42, v42, v48
	s_delay_alu instid0(VALU_DEP_4) | instskip(SKIP_3) | instid1(VALU_DEP_4)
	v_dual_mul_f32 v55, 0xbf7ba420, v8 :: v_dual_fmamk_f32 v48, v57, 0xbf7ba420, v35
	v_dual_mul_f32 v8, 0x3ee437d1, v8 :: v_dual_add_f32 v45, v45, v46
	v_add_f32_e32 v41, v41, v43
	v_add_f32_e32 v43, v44, v51
	;; [unrolled: 1-line block ×3, first 2 shown]
	v_fmamk_f32 v46, v9, 0x3e3c28d5, v55
	v_mul_f32_e32 v48, 0x3f65296c, v53
	v_fmamk_f32 v49, v9, 0xbf65296c, v8
	v_sub_f32_e32 v51, v25, v7
	v_add_f32_e32 v7, v25, v7
	v_dual_fmac_f32 v55, 0xbe3c28d5, v9 :: v_dual_add_f32 v46, v46, v47
	v_fmamk_f32 v47, v57, 0x3ee437d1, v48
	v_dual_add_f32 v28, v49, v28 :: v_dual_add_f32 v49, v24, v6
	v_mul_f32_e32 v25, 0xbf06c442, v51
	v_fma_f32 v48, 0x3ee437d1, v57, -v48
	v_fmac_f32_e32 v8, 0x3f65296c, v9
	v_dual_sub_f32 v6, v24, v6 :: v_dual_mul_f32 v9, 0xbf59a7d5, v7
	s_delay_alu instid0(VALU_DEP_3) | instskip(NEXT) | instid1(VALU_DEP_3)
	v_dual_fmamk_f32 v24, v49, 0xbf59a7d5, v25 :: v_dual_add_f32 v13, v48, v13
	v_add_f32_e32 v8, v8, v10
	v_mul_f32_e32 v10, 0x3f65296c, v51
	s_delay_alu instid0(VALU_DEP_4) | instskip(NEXT) | instid1(VALU_DEP_4)
	v_fmamk_f32 v48, v6, 0x3f06c442, v9
	v_add_f32_e32 v12, v24, v12
	v_fma_f32 v24, 0xbf59a7d5, v49, -v25
	v_fmac_f32_e32 v9, 0xbf06c442, v6
	s_delay_alu instid0(VALU_DEP_4) | instskip(SKIP_2) | instid1(VALU_DEP_4)
	v_dual_fmamk_f32 v25, v49, 0x3ee437d1, v10 :: v_dual_add_f32 v14, v48, v14
	v_mul_f32_e32 v48, 0x3ee437d1, v7
	v_fma_f32 v35, 0xbf7ba420, v57, -v35
	v_dual_add_f32 v24, v24, v26 :: v_dual_add_f32 v9, v9, v11
	s_delay_alu instid0(VALU_DEP_4)
	v_add_f32_e32 v11, v25, v17
	v_mul_f32_e32 v17, 0xbf7ee86f, v51
	v_fmamk_f32 v25, v6, 0xbf65296c, v48
	v_fma_f32 v10, 0x3ee437d1, v49, -v10
	v_fmac_f32_e32 v48, 0x3f65296c, v6
	v_dual_mul_f32 v26, 0x3dbcf732, v7 :: v_dual_add_f32 v35, v35, v50
	v_add_f32_e32 v50, v55, v52
	v_fmamk_f32 v52, v49, 0x3dbcf732, v17
	v_add_f32_e32 v19, v25, v19
	v_dual_add_f32 v10, v10, v15 :: v_dual_add_f32 v15, v48, v16
	v_fmamk_f32 v16, v6, 0x3f7ee86f, v26
	v_mul_f32_e32 v25, 0x3f4c4adb, v51
	v_fma_f32 v17, 0x3dbcf732, v49, -v17
	v_dual_fmac_f32 v26, 0xbf7ee86f, v6 :: v_dual_add_f32 v21, v52, v21
	s_delay_alu instid0(VALU_DEP_4) | instskip(NEXT) | instid1(VALU_DEP_4)
	v_add_f32_e32 v16, v16, v23
	v_dual_mul_f32 v23, 0xbf1a4643, v7 :: v_dual_fmamk_f32 v48, v49, 0xbf1a4643, v25
	s_delay_alu instid0(VALU_DEP_4) | instskip(NEXT) | instid1(VALU_DEP_4)
	v_add_f32_e32 v17, v17, v18
	v_add_f32_e32 v18, v26, v22
	v_mul_f32_e32 v22, 0xbeb8f4ab, v51
	s_delay_alu instid0(VALU_DEP_4) | instskip(SKIP_2) | instid1(VALU_DEP_4)
	v_dual_fmamk_f32 v26, v6, 0xbf4c4adb, v23 :: v_dual_add_f32 v27, v48, v27
	v_fma_f32 v25, 0xbf1a4643, v49, -v25
	v_fmac_f32_e32 v23, 0x3f4c4adb, v6
	v_fmamk_f32 v48, v49, 0x3f6eb680, v22
	v_fma_f32 v22, 0x3f6eb680, v49, -v22
	s_delay_alu instid0(VALU_DEP_3) | instskip(NEXT) | instid1(VALU_DEP_3)
	v_dual_add_f32 v20, v25, v20 :: v_dual_add_f32 v23, v23, v39
	v_dual_add_f32 v25, v48, v34 :: v_dual_mul_f32 v34, 0xbe3c28d5, v51
	v_mul_f32_e32 v48, 0xbf7ba420, v7
	v_dual_add_f32 v26, v26, v29 :: v_dual_mul_f32 v29, 0x3f6eb680, v7
	v_add_f32_e32 v22, v22, v30
	s_delay_alu instid0(VALU_DEP_4) | instskip(NEXT) | instid1(VALU_DEP_4)
	v_fmamk_f32 v52, v49, 0xbf7ba420, v34
	v_fmamk_f32 v30, v6, 0x3e3c28d5, v48
	v_fma_f32 v34, 0xbf7ba420, v49, -v34
	v_fmamk_f32 v39, v6, 0x3eb8f4ab, v29
	v_fmac_f32_e32 v29, 0xbeb8f4ab, v6
	v_fmac_f32_e32 v48, 0xbe3c28d5, v6
	v_add_f32_e32 v30, v30, v45
	v_add_f32_e32 v41, v34, v41
	;; [unrolled: 1-line block ×4, first 2 shown]
	v_dual_add_f32 v31, v52, v42 :: v_dual_mul_f32 v40, 0x3f2c7751, v51
	v_mul_f32_e32 v42, 0x3f3d2fb0, v7
	v_add_f32_e32 v43, v48, v43
	v_mul_f32_e32 v34, 0xbf763a35, v51
	v_mul_f32_e32 v7, 0xbe8c1d8e, v7
	v_fmamk_f32 v45, v49, 0x3f3d2fb0, v40
	v_fmamk_f32 v48, v6, 0xbf2c7751, v42
	v_fma_f32 v40, 0x3f3d2fb0, v49, -v40
	v_fmac_f32_e32 v42, 0x3f2c7751, v6
	s_delay_alu instid0(VALU_DEP_4) | instskip(NEXT) | instid1(VALU_DEP_4)
	v_add_f32_e32 v44, v45, v44
	v_dual_fmamk_f32 v45, v49, 0xbe8c1d8e, v34 :: v_dual_add_f32 v46, v48, v46
	v_fma_f32 v34, 0xbe8c1d8e, v49, -v34
	v_dual_add_f32 v48, v4, v5 :: v_dual_add_f32 v49, v2, v3
	v_add_f32_e32 v47, v47, v54
	v_add_f32_e32 v42, v42, v50
	v_sub_f32_e32 v50, v2, v3
	v_dual_add_f32 v40, v40, v35 :: v_dual_fmamk_f32 v35, v6, 0x3f763a35, v7
	s_delay_alu instid0(VALU_DEP_4) | instskip(SKIP_4) | instid1(VALU_DEP_4)
	v_add_f32_e32 v45, v45, v47
	v_sub_f32_e32 v47, v4, v5
	v_mul_f32_e32 v5, 0xbf7ba420, v48
	v_fmac_f32_e32 v7, 0xbf763a35, v6
	v_dual_add_f32 v51, v35, v28 :: v_dual_add_f32 v52, v34, v13
	v_mul_f32_e32 v4, 0xbe3c28d5, v47
	s_delay_alu instid0(VALU_DEP_4) | instskip(SKIP_2) | instid1(VALU_DEP_4)
	v_fmamk_f32 v3, v50, 0x3e3c28d5, v5
	v_mul_f32_e32 v6, 0x3eb8f4ab, v47
	v_fmac_f32_e32 v5, 0xbe3c28d5, v50
	v_dual_add_f32 v53, v7, v8 :: v_dual_fmamk_f32 v2, v49, 0xbf7ba420, v4
	v_fma_f32 v4, 0xbf7ba420, v49, -v4
	s_delay_alu instid0(VALU_DEP_4) | instskip(NEXT) | instid1(VALU_DEP_4)
	v_dual_fmamk_f32 v7, v49, 0x3f6eb680, v6 :: v_dual_mul_f32 v8, 0x3f6eb680, v48
	v_add_f32_e32 v35, v5, v9
	s_delay_alu instid0(VALU_DEP_4) | instskip(NEXT) | instid1(VALU_DEP_4)
	v_dual_mul_f32 v9, 0xbf06c442, v47 :: v_dual_add_f32 v2, v2, v12
	v_add_f32_e32 v34, v4, v24
	s_delay_alu instid0(VALU_DEP_4)
	v_dual_add_f32 v4, v7, v11 :: v_dual_fmamk_f32 v5, v50, 0xbeb8f4ab, v8
	v_fma_f32 v6, 0x3f6eb680, v49, -v6
	v_fmac_f32_e32 v8, 0x3eb8f4ab, v50
	v_dual_fmamk_f32 v11, v49, 0xbf59a7d5, v9 :: v_dual_mul_f32 v12, 0xbf59a7d5, v48
	v_mul_f32_e32 v13, 0x3f2c7751, v47
	v_add_f32_e32 v3, v3, v14
	s_delay_alu instid0(VALU_DEP_4) | instskip(NEXT) | instid1(VALU_DEP_4)
	v_dual_add_f32 v6, v6, v10 :: v_dual_add_f32 v7, v8, v15
	v_add_f32_e32 v8, v11, v21
	s_delay_alu instid0(VALU_DEP_4)
	v_fmamk_f32 v14, v49, 0x3f3d2fb0, v13
	v_fmamk_f32 v10, v50, 0x3f06c442, v12
	v_fma_f32 v11, 0xbf59a7d5, v49, -v9
	v_fmac_f32_e32 v12, 0xbf06c442, v50
	v_mul_f32_e32 v15, 0x3f3d2fb0, v48
	v_add_f32_e32 v5, v5, v19
	s_delay_alu instid0(VALU_DEP_4) | instskip(NEXT) | instid1(VALU_DEP_3)
	v_dual_add_f32 v9, v10, v16 :: v_dual_add_f32 v10, v11, v17
	v_dual_add_f32 v11, v12, v18 :: v_dual_fmamk_f32 v16, v50, 0xbf2c7751, v15
	v_mul_f32_e32 v17, 0xbf4c4adb, v47
	v_add_f32_e32 v12, v14, v27
	v_fma_f32 v14, 0x3f3d2fb0, v49, -v13
	v_mul_f32_e32 v19, 0xbf1a4643, v48
	v_fmac_f32_e32 v15, 0x3f2c7751, v50
	v_dual_add_f32 v13, v16, v26 :: v_dual_fmamk_f32 v16, v49, 0xbf1a4643, v17
	s_delay_alu instid0(VALU_DEP_4) | instskip(NEXT) | instid1(VALU_DEP_4)
	v_dual_add_f32 v14, v14, v20 :: v_dual_mul_f32 v21, 0x3f65296c, v47
	v_fmamk_f32 v18, v50, 0x3f4c4adb, v19
	v_fma_f32 v20, 0xbf1a4643, v49, -v17
	v_dual_mul_f32 v24, 0x3ee437d1, v48 :: v_dual_add_f32 v15, v15, v23
	v_dual_add_f32 v16, v16, v25 :: v_dual_fmac_f32 v19, 0xbf4c4adb, v50
	v_fmamk_f32 v23, v49, 0x3ee437d1, v21
	s_delay_alu instid0(VALU_DEP_4) | instskip(NEXT) | instid1(VALU_DEP_4)
	v_dual_add_f32 v17, v18, v39 :: v_dual_add_f32 v18, v20, v22
	v_fmamk_f32 v22, v50, 0xbf65296c, v24
	v_mul_f32_e32 v25, 0xbf763a35, v47
	v_mul_f32_e32 v27, 0xbe8c1d8e, v48
	v_add_f32_e32 v19, v19, v29
	v_add_f32_e32 v20, v23, v31
	v_fma_f32 v23, 0x3ee437d1, v49, -v21
	v_fmac_f32_e32 v24, 0x3f65296c, v50
	v_dual_add_f32 v21, v22, v30 :: v_dual_fmamk_f32 v26, v49, 0xbe8c1d8e, v25
	v_fmamk_f32 v28, v50, 0x3f763a35, v27
	v_fma_f32 v29, 0xbe8c1d8e, v49, -v25
	v_mul_f32_e32 v30, 0x3f7ee86f, v47
	v_dual_mul_f32 v31, 0x3dbcf732, v48 :: v_dual_add_f32 v22, v23, v41
	v_dual_add_f32 v23, v24, v43 :: v_dual_add_f32 v24, v26, v44
	s_delay_alu instid0(VALU_DEP_4) | instskip(NEXT) | instid1(VALU_DEP_4)
	v_dual_add_f32 v25, v28, v46 :: v_dual_add_f32 v26, v29, v40
	v_fmamk_f32 v28, v49, 0x3dbcf732, v30
	s_delay_alu instid0(VALU_DEP_4) | instskip(SKIP_2) | instid1(VALU_DEP_4)
	v_fmamk_f32 v29, v50, 0xbf7ee86f, v31
	v_fma_f32 v30, 0x3dbcf732, v49, -v30
	v_fmac_f32_e32 v31, 0x3f7ee86f, v50
	v_dual_fmac_f32 v27, 0xbf763a35, v50 :: v_dual_add_f32 v28, v28, v45
	s_delay_alu instid0(VALU_DEP_3) | instskip(NEXT) | instid1(VALU_DEP_3)
	v_dual_add_f32 v29, v29, v51 :: v_dual_add_f32 v30, v30, v52
	v_add_f32_e32 v31, v31, v53
	v_add_nc_u32_e32 v39, 0x800, v157
	s_delay_alu instid0(VALU_DEP_4)
	v_add_f32_e32 v27, v27, v42
	ds_store_2addr_b64 v157, v[0:1], v[2:3] offset1:34
	ds_store_2addr_b64 v157, v[4:5], v[8:9] offset0:68 offset1:102
	ds_store_2addr_b64 v157, v[12:13], v[16:17] offset0:136 offset1:170
	;; [unrolled: 1-line block ×7, first 2 shown]
	ds_store_b64 v157, v[34:35] offset:4352
	v_add_nc_u32_e32 v4, 0x1400, v142
	v_add_nc_u32_e32 v16, 0x1c00, v142
	s_waitcnt lgkmcnt(0)
	s_barrier
	buffer_gl0_inv
	ds_load_2addr_b64 v[12:15], v142 offset1:68
	ds_load_2addr_b64 v[24:27], v38 offset0:66 offset1:134
	ds_load_2addr_b64 v[0:3], v142 offset0:136 offset1:204
	ds_load_2addr_b64 v[28:31], v4 offset0:74 offset1:142
	ds_load_2addr_b64 v[8:11], v36 offset0:16 offset1:84
	ds_load_2addr_b64 v[20:23], v37 offset0:82 offset1:150
	ds_load_2addr_b64 v[4:7], v36 offset0:152 offset1:220
	ds_load_2addr_b64 v[16:19], v16 offset0:90 offset1:158
	v_add_nc_u32_e32 v38, 0xcc0, v142
	v_add_nc_u32_e32 v37, 0xee0, v142
	s_and_saveexec_b32 s0, vcc_lo
	s_cbranch_execz .LBB0_15
; %bb.14:
	ds_load_b64 v[34:35], v142 offset:4352
	ds_load_b64 v[32:33], v142 offset:8976
.LBB0_15:
	s_or_b32 exec_lo, exec_lo, s0
	s_waitcnt lgkmcnt(6)
	v_dual_mul_f32 v39, v128, v25 :: v_dual_mul_f32 v42, v126, v26
	v_dual_mul_f32 v40, v128, v24 :: v_dual_mul_f32 v41, v126, v27
	s_waitcnt lgkmcnt(0)
	v_mul_f32_e32 v43, v132, v17
	s_delay_alu instid0(VALU_DEP_3)
	v_fmac_f32_e32 v39, v127, v24
	v_fma_f32 v27, v125, v27, -v42
	v_fma_f32 v24, v127, v25, -v40
	v_dual_mul_f32 v40, v130, v28 :: v_dual_fmac_f32 v41, v125, v26
	v_mul_f32_e32 v26, v122, v31
	v_dual_mul_f32 v25, v130, v29 :: v_dual_mul_f32 v42, v136, v23
	v_dual_mul_f32 v44, v134, v19 :: v_dual_fmac_f32 v43, v131, v16
	s_delay_alu instid0(VALU_DEP_3) | instskip(NEXT) | instid1(VALU_DEP_3)
	v_fmac_f32_e32 v26, v121, v30
	v_fmac_f32_e32 v25, v129, v28
	v_fma_f32 v28, v129, v29, -v40
	v_dual_mul_f32 v29, v122, v30 :: v_dual_mul_f32 v40, v124, v20
	v_mul_f32_e32 v30, v124, v21
	s_delay_alu instid0(VALU_DEP_2) | instskip(NEXT) | instid1(VALU_DEP_2)
	v_fma_f32 v29, v121, v31, -v29
	v_dual_mul_f32 v31, v136, v22 :: v_dual_fmac_f32 v30, v123, v20
	s_delay_alu instid0(VALU_DEP_4) | instskip(SKIP_2) | instid1(VALU_DEP_4)
	v_fma_f32 v40, v123, v21, -v40
	v_dual_mul_f32 v20, v132, v16 :: v_dual_mul_f32 v21, v134, v18
	v_fmac_f32_e32 v42, v135, v22
	v_fma_f32 v31, v135, v23, -v31
	v_sub_f32_e32 v16, v12, v39
	v_dual_fmac_f32 v44, v133, v18 :: v_dual_sub_f32 v23, v3, v29
	v_fma_f32 v45, v133, v19, -v21
	v_sub_f32_e32 v19, v15, v27
	v_fma_f32 v39, v131, v17, -v20
	v_dual_sub_f32 v17, v13, v24 :: v_dual_sub_f32 v18, v14, v41
	v_dual_sub_f32 v21, v1, v28 :: v_dual_sub_f32 v20, v0, v25
	v_sub_f32_e32 v25, v9, v40
	v_fma_f32 v12, v12, 2.0, -v16
	s_delay_alu instid0(VALU_DEP_4)
	v_fma_f32 v13, v13, 2.0, -v17
	v_dual_sub_f32 v22, v2, v26 :: v_dual_sub_f32 v27, v11, v31
	v_dual_sub_f32 v24, v8, v30 :: v_dual_sub_f32 v29, v5, v39
	;; [unrolled: 1-line block ×3, first 2 shown]
	v_sub_f32_e32 v28, v4, v43
	v_sub_f32_e32 v30, v6, v44
	v_fma_f32 v14, v14, 2.0, -v18
	v_fma_f32 v15, v15, 2.0, -v19
	;; [unrolled: 1-line block ×14, first 2 shown]
	ds_store_b64 v142, v[12:13]
	ds_store_b64 v158, v[16:17] offset:4624
	ds_store_b64 v142, v[14:15] offset:544
	;; [unrolled: 1-line block ×11, first 2 shown]
	ds_store_2addr_b64 v36, v[4:5], v[6:7] offset0:152 offset1:220
	ds_store_b64 v38, v[28:29] offset:4624
	ds_store_b64 v37, v[30:31] offset:4624
	s_and_saveexec_b32 s0, vcc_lo
	s_cbranch_execz .LBB0_17
; %bb.16:
	v_mul_f32_e32 v0, v120, v32
	s_delay_alu instid0(VALU_DEP_1) | instskip(NEXT) | instid1(VALU_DEP_1)
	v_fma_f32 v0, v119, v33, -v0
	v_dual_mul_f32 v2, v120, v33 :: v_dual_sub_f32 v1, v35, v0
	s_delay_alu instid0(VALU_DEP_1) | instskip(NEXT) | instid1(VALU_DEP_2)
	v_fmac_f32_e32 v2, v119, v32
	v_fma_f32 v3, v35, 2.0, -v1
	s_delay_alu instid0(VALU_DEP_2) | instskip(NEXT) | instid1(VALU_DEP_1)
	v_sub_f32_e32 v0, v34, v2
	v_fma_f32 v2, v34, 2.0, -v0
	ds_store_b64 v142, v[2:3] offset:4352
	ds_store_b64 v158, v[0:1] offset:8976
.LBB0_17:
	s_or_b32 exec_lo, exec_lo, s0
	s_waitcnt lgkmcnt(0)
	s_barrier
	buffer_gl0_inv
	ds_load_2addr_b64 v[0:3], v142 offset1:68
	v_add_nc_u32_e32 v8, 0x800, v142
	ds_load_2addr_b64 v[4:7], v142 offset0:136 offset1:204
	v_mad_u64_u32 v[20:21], null, s6, v64, 0
	v_mad_u64_u32 v[22:23], null, s4, v141, 0
	s_mov_b32 s0, 0xd10d4986
	s_mov_b32 s1, 0x3f4c5894
	s_mul_i32 s6, s5, 0x220
	s_mul_hi_u32 s8, s4, 0x220
	s_mulk_i32 s4, 0x220
	v_add_nc_u32_e32 v16, 0x1000, v142
	s_delay_alu instid0(VALU_DEP_2) | instskip(SKIP_4) | instid1(VALU_DEP_3)
	v_mad_u64_u32 v[32:33], null, s7, v64, v[21:22]
	s_waitcnt lgkmcnt(1)
	v_mul_f32_e32 v9, v86, v1
	v_mul_f32_e32 v11, v90, v3
	;; [unrolled: 1-line block ×3, first 2 shown]
	v_dual_mul_f32 v12, v90, v2 :: v_dual_fmac_f32 v9, v85, v0
	s_delay_alu instid0(VALU_DEP_3) | instskip(NEXT) | instid1(VALU_DEP_3)
	v_fmac_f32_e32 v11, v89, v2
	v_fma_f32 v10, v85, v1, -v10
	s_delay_alu instid0(VALU_DEP_3)
	v_fma_f32 v12, v89, v3, -v12
	ds_load_2addr_b64 v[0:3], v8 offset0:16 offset1:84
	v_cvt_f64_f32_e32 v[24:25], v9
	v_cvt_f64_f32_e32 v[28:29], v11
	;; [unrolled: 1-line block ×4, first 2 shown]
	ds_load_2addr_b64 v[8:11], v8 offset0:152 offset1:220
	ds_load_2addr_b64 v[12:15], v16 offset0:32 offset1:100
	;; [unrolled: 1-line block ×3, first 2 shown]
	s_clause 0x2
	scratch_load_b64 v[37:38], off, off offset:16
	scratch_load_b64 v[39:40], off, off offset:24
	scratch_load_b64 v[41:42], off, off offset:32
	s_waitcnt lgkmcnt(1)
	v_dual_mul_f32 v53, v98, v12 :: v_dual_add_nc_u32 v50, 0x1800, v142
	s_waitcnt lgkmcnt(0)
	v_dual_mul_f32 v54, v96, v15 :: v_dual_mul_f32 v57, v94, v16
	v_mul_f32_e32 v58, v92, v19
	v_dual_mul_f32 v55, v96, v14 :: v_dual_mul_f32 v56, v94, v17
	v_fma_f32 v53, v97, v13, -v53
	v_dual_mul_f32 v52, v98, v13 :: v_dual_mul_f32 v59, v92, v18
	s_delay_alu instid0(VALU_DEP_4) | instskip(NEXT) | instid1(VALU_DEP_2)
	v_fmac_f32_e32 v58, v91, v18
	v_fmac_f32_e32 v52, v97, v12
	v_mad_u64_u32 v[33:34], null, s5, v141, v[23:24]
	v_mul_f64 v[24:25], v[24:25], s[0:1]
	v_mul_f64 v[26:27], v[26:27], s[0:1]
	;; [unrolled: 1-line block ×4, first 2 shown]
	s_add_i32 s5, s8, s6
	s_delay_alu instid0(VALU_DEP_4) | instskip(NEXT) | instid1(VALU_DEP_4)
	v_cvt_f32_f64_e32 v24, v[24:25]
	v_cvt_f32_f64_e32 v25, v[26:27]
	s_delay_alu instid0(VALU_DEP_4) | instskip(NEXT) | instid1(VALU_DEP_4)
	v_cvt_f32_f64_e32 v26, v[28:29]
	v_cvt_f32_f64_e32 v27, v[30:31]
	v_cvt_f64_f32_e32 v[30:31], v52
	s_delay_alu instid0(VALU_DEP_1) | instskip(NEXT) | instid1(VALU_DEP_1)
	v_mul_f64 v[30:31], v[30:31], s[0:1]
	v_cvt_f32_f64_e32 v30, v[30:31]
	s_waitcnt vmcnt(2)
	v_mul_f32_e32 v21, v38, v5
	s_waitcnt vmcnt(1)
	v_dual_mul_f32 v35, v38, v4 :: v_dual_mul_f32 v38, v40, v7
	s_delay_alu instid0(VALU_DEP_2) | instskip(NEXT) | instid1(VALU_DEP_2)
	v_dual_mul_f32 v36, v40, v6 :: v_dual_fmac_f32 v21, v37, v4
	v_fma_f32 v4, v37, v5, -v35
	s_delay_alu instid0(VALU_DEP_3) | instskip(NEXT) | instid1(VALU_DEP_3)
	v_fmac_f32_e32 v38, v39, v6
	v_fma_f32 v5, v39, v7, -v36
	s_waitcnt vmcnt(0)
	v_mul_f32_e32 v7, v42, v0
	v_mul_f32_e32 v6, v42, v1
	scratch_load_b64 v[42:43], off, off offset:48 ; 8-byte Folded Reload
	v_cvt_f64_f32_e32 v[34:35], v21
	v_mov_b32_e32 v21, v32
	v_cvt_f64_f32_e32 v[36:37], v4
	v_cvt_f64_f32_e32 v[38:39], v38
	s_delay_alu instid0(VALU_DEP_3) | instskip(NEXT) | instid1(VALU_DEP_1)
	v_lshlrev_b64 v[20:21], 3, v[20:21]
	v_add_co_u32 v18, vcc_lo, s2, v20
	s_delay_alu instid0(VALU_DEP_3)
	v_mul_f64 v[12:13], v[38:39], s[0:1]
	s_waitcnt vmcnt(0)
	v_mul_f32_e32 v23, v43, v3
	v_mul_f32_e32 v40, v43, v2
	v_fmac_f32_e32 v6, v41, v0
	v_fma_f32 v0, v41, v1, -v7
	s_delay_alu instid0(VALU_DEP_4) | instskip(NEXT) | instid1(VALU_DEP_4)
	v_fmac_f32_e32 v23, v42, v2
	v_fma_f32 v1, v42, v3, -v40
	v_cvt_f64_f32_e32 v[40:41], v5
	v_cvt_f64_f32_e32 v[42:43], v6
	;; [unrolled: 1-line block ×5, first 2 shown]
	ds_load_2addr_b64 v[0:3], v50 offset0:48 offset1:116
	ds_load_2addr_b64 v[4:7], v50 offset0:184 offset1:252
	scratch_load_b64 v[60:61], off, off     ; 8-byte Folded Reload
	v_mov_b32_e32 v23, v33
	s_delay_alu instid0(VALU_DEP_1)
	v_lshlrev_b64 v[22:23], 3, v[22:23]
	v_mul_f64 v[38:39], v[46:47], s[0:1]
	s_waitcnt vmcnt(0)
	v_mul_f32_e32 v50, v61, v9
	v_mul_f32_e32 v32, v61, v8
	scratch_load_b64 v[61:62], off, off offset:8 ; 8-byte Folded Reload
	s_waitcnt vmcnt(0)
	v_mul_f32_e32 v33, v62, v10
	v_dual_mul_f32 v51, v62, v11 :: v_dual_fmac_f32 v50, v60, v8
	v_fma_f32 v60, v60, v9, -v32
	v_mul_f64 v[8:9], v[34:35], s[0:1]
	v_mul_f64 v[34:35], v[42:43], s[0:1]
	s_delay_alu instid0(VALU_DEP_4)
	v_fmac_f32_e32 v51, v61, v10
	v_fma_f32 v61, v61, v11, -v33
	v_mul_f64 v[10:11], v[36:37], s[0:1]
	v_mul_f64 v[36:37], v[44:45], s[0:1]
	v_add_co_ci_u32_e32 v44, vcc_lo, s3, v21, vcc_lo
	v_add_co_u32 v22, vcc_lo, v18, v22
	v_cvt_f64_f32_e32 v[42:43], v53
	s_delay_alu instid0(VALU_DEP_3) | instskip(NEXT) | instid1(VALU_DEP_3)
	v_add_co_ci_u32_e32 v23, vcc_lo, v44, v23, vcc_lo
	v_add_co_u32 v46, vcc_lo, v22, s4
	v_mul_f64 v[32:33], v[40:41], s[0:1]
	s_delay_alu instid0(VALU_DEP_3)
	v_add_co_ci_u32_e32 v47, vcc_lo, s5, v23, vcc_lo
	s_clause 0x1
	global_store_b64 v[22:23], v[24:25], off
	global_store_b64 v[46:47], v[26:27], off
	scratch_load_b64 v[52:53], off, off offset:64 ; 8-byte Folded Reload
	v_fmac_f32_e32 v54, v95, v14
	v_mul_f64 v[40:41], v[48:49], s[0:1]
	v_fma_f32 v48, v95, v15, -v55
	v_fma_f32 v55, v93, v17, -v57
	v_cvt_f64_f32_e32 v[14:15], v50
	v_add_co_u32 v50, vcc_lo, v46, s4
	v_cvt_f64_f32_e32 v[20:21], v51
	v_add_co_ci_u32_e32 v51, vcc_lo, s5, v47, vcc_lo
	v_cvt_f64_f32_e32 v[22:23], v55
	scratch_load_b64 v[46:47], off, off offset:56 ; 8-byte Folded Reload
	ds_load_b64 v[26:27], v142 offset:8704
	v_cvt_f64_f32_e32 v[28:29], v61
	v_cvt_f64_f32_e32 v[48:49], v48
	;; [unrolled: 1-line block ×3, first 2 shown]
	v_cvt_f32_f64_e32 v8, v[8:9]
	v_cvt_f32_f64_e32 v9, v[10:11]
	;; [unrolled: 1-line block ×5, first 2 shown]
	v_fma_f32 v34, v91, v19, -v59
	v_mul_f64 v[42:43], v[42:43], s[0:1]
	s_delay_alu instid0(VALU_DEP_2)
	v_cvt_f64_f32_e32 v[34:35], v34
	v_cvt_f32_f64_e32 v11, v[32:33]
	v_cvt_f32_f64_e32 v32, v[38:39]
	v_cvt_f32_f64_e32 v33, v[40:41]
	v_mul_f64 v[14:15], v[14:15], s[0:1]
	v_mul_f64 v[20:21], v[20:21], s[0:1]
	;; [unrolled: 1-line block ×5, first 2 shown]
	v_cvt_f32_f64_e32 v31, v[42:43]
	v_cvt_f32_f64_e32 v14, v[14:15]
	;; [unrolled: 1-line block ×4, first 2 shown]
	s_waitcnt vmcnt(1) lgkmcnt(2)
	v_mul_f32_e32 v37, v53, v0
	v_cvt_f64_f32_e32 v[44:45], v54
	scratch_load_b64 v[54:55], off, off offset:40 ; 8-byte Folded Reload
	v_fmac_f32_e32 v56, v93, v16
	v_cvt_f64_f32_e32 v[16:17], v60
	s_waitcnt lgkmcnt(0)
	v_dual_mul_f32 v36, v53, v1 :: v_dual_mul_f32 v53, v88, v26
	v_fma_f32 v37, v52, v1, -v37
	s_delay_alu instid0(VALU_DEP_2)
	v_fma_f32 v53, v87, v27, -v53
	s_waitcnt vmcnt(1)
	v_mul_f32_e32 v38, v47, v3
	v_mul_f32_e32 v39, v47, v2
	v_cvt_f64_f32_e32 v[18:19], v56
	v_mul_f32_e32 v47, v84, v6
	v_fmac_f32_e32 v36, v52, v0
	v_fmac_f32_e32 v38, v46, v2
	v_fma_f32 v39, v46, v3, -v39
	v_mul_f32_e32 v46, v84, v7
	v_mul_f32_e32 v52, v88, v27
	v_fma_f32 v47, v83, v7, -v47
	v_cvt_f64_f32_e32 v[0:1], v36
	v_cvt_f64_f32_e32 v[2:3], v37
	v_fmac_f32_e32 v46, v83, v6
	v_fmac_f32_e32 v52, v87, v26
	v_cvt_f64_f32_e32 v[36:37], v38
	v_cvt_f64_f32_e32 v[38:39], v39
	;; [unrolled: 1-line block ×6, first 2 shown]
	v_mul_f64 v[44:45], v[44:45], s[0:1]
	v_mul_f64 v[16:17], v[16:17], s[0:1]
	;; [unrolled: 1-line block ×7, first 2 shown]
	v_cvt_f32_f64_e32 v15, v[16:17]
	v_cvt_f32_f64_e32 v18, v[18:19]
	;; [unrolled: 1-line block ×5, first 2 shown]
	s_waitcnt vmcnt(0)
	v_mul_f32_e32 v40, v55, v5
	s_delay_alu instid0(VALU_DEP_1) | instskip(SKIP_1) | instid1(VALU_DEP_2)
	v_fmac_f32_e32 v40, v54, v4
	v_mul_f32_e32 v4, v55, v4
	v_cvt_f64_f32_e32 v[40:41], v40
	s_delay_alu instid0(VALU_DEP_2) | instskip(SKIP_2) | instid1(VALU_DEP_3)
	v_fma_f32 v4, v54, v5, -v4
	v_add_co_u32 v54, vcc_lo, v50, s4
	v_add_co_ci_u32_e32 v55, vcc_lo, s5, v51, vcc_lo
	v_cvt_f64_f32_e32 v[4:5], v4
	s_delay_alu instid0(VALU_DEP_3) | instskip(NEXT) | instid1(VALU_DEP_3)
	v_add_co_u32 v56, vcc_lo, v54, s4
	v_add_co_ci_u32_e32 v57, vcc_lo, s5, v55, vcc_lo
	s_delay_alu instid0(VALU_DEP_2) | instskip(NEXT) | instid1(VALU_DEP_2)
	v_add_co_u32 v58, vcc_lo, v56, s4
	v_add_co_ci_u32_e32 v59, vcc_lo, s5, v57, vcc_lo
	s_clause 0x2
	global_store_b64 v[50:51], v[8:9], off
	global_store_b64 v[54:55], v[10:11], off
	;; [unrolled: 1-line block ×4, first 2 shown]
	v_mul_f64 v[8:9], v[24:25], s[0:1]
	v_mul_f64 v[10:11], v[34:35], s[0:1]
	;; [unrolled: 1-line block ×6, first 2 shown]
	v_add_co_u32 v16, vcc_lo, v58, s4
	v_add_co_ci_u32_e32 v17, vcc_lo, s5, v59, vcc_lo
	s_delay_alu instid0(VALU_DEP_2) | instskip(NEXT) | instid1(VALU_DEP_2)
	v_add_co_u32 v28, vcc_lo, v16, s4
	v_add_co_ci_u32_e32 v29, vcc_lo, s5, v17, vcc_lo
	global_store_b64 v[16:17], v[14:15], off
	v_add_co_u32 v38, vcc_lo, v28, s4
	v_add_co_ci_u32_e32 v39, vcc_lo, s5, v29, vcc_lo
	global_store_b64 v[28:29], v[20:21], off
	v_mul_f64 v[32:33], v[40:41], s[0:1]
	v_cvt_f32_f64_e32 v40, v[44:45]
	v_cvt_f32_f64_e32 v41, v[48:49]
	v_add_co_u32 v22, vcc_lo, v38, s4
	v_add_co_ci_u32_e32 v23, vcc_lo, s5, v39, vcc_lo
	v_mul_f64 v[4:5], v[4:5], s[0:1]
	global_store_b64 v[38:39], v[30:31], off
	v_cvt_f32_f64_e32 v8, v[8:9]
	v_cvt_f32_f64_e32 v9, v[10:11]
	;; [unrolled: 1-line block ×4, first 2 shown]
	v_add_co_u32 v12, vcc_lo, v22, s4
	v_add_co_ci_u32_e32 v13, vcc_lo, s5, v23, vcc_lo
	s_delay_alu instid0(VALU_DEP_2) | instskip(NEXT) | instid1(VALU_DEP_2)
	v_add_co_u32 v14, vcc_lo, v12, s4
	v_add_co_ci_u32_e32 v15, vcc_lo, s5, v13, vcc_lo
	s_delay_alu instid0(VALU_DEP_2) | instskip(NEXT) | instid1(VALU_DEP_2)
	v_add_co_u32 v16, vcc_lo, v14, s4
	v_add_co_ci_u32_e32 v17, vcc_lo, s5, v15, vcc_lo
	s_delay_alu instid0(VALU_DEP_2) | instskip(SKIP_1) | instid1(VALU_DEP_3)
	v_add_co_u32 v20, vcc_lo, v16, s4
	v_cvt_f32_f64_e32 v10, v[32:33]
	v_add_co_ci_u32_e32 v21, vcc_lo, s5, v17, vcc_lo
	global_store_b64 v[22:23], v[40:41], off
	v_add_co_u32 v22, vcc_lo, v20, s4
	v_add_co_ci_u32_e32 v23, vcc_lo, s5, v21, vcc_lo
	v_cvt_f32_f64_e32 v11, v[4:5]
	v_cvt_f32_f64_e32 v4, v[6:7]
	;; [unrolled: 1-line block ×5, first 2 shown]
	global_store_b64 v[12:13], v[18:19], off
	v_add_co_u32 v12, vcc_lo, v22, s4
	v_add_co_ci_u32_e32 v13, vcc_lo, s5, v23, vcc_lo
	global_store_b64 v[14:15], v[8:9], off
	v_add_co_u32 v8, vcc_lo, v12, s4
	v_add_co_ci_u32_e32 v9, vcc_lo, s5, v13, vcc_lo
	global_store_b64 v[16:17], v[0:1], off
	global_store_b64 v[20:21], v[2:3], off
	;; [unrolled: 1-line block ×5, first 2 shown]
.LBB0_18:
	s_nop 0
	s_sendmsg sendmsg(MSG_DEALLOC_VGPRS)
	s_endpgm
	.section	.rodata,"a",@progbits
	.p2align	6, 0x0
	.amdhsa_kernel bluestein_single_back_len1156_dim1_sp_op_CI_CI
		.amdhsa_group_segment_fixed_size 27744
		.amdhsa_private_segment_fixed_size 116
		.amdhsa_kernarg_size 104
		.amdhsa_user_sgpr_count 15
		.amdhsa_user_sgpr_dispatch_ptr 0
		.amdhsa_user_sgpr_queue_ptr 0
		.amdhsa_user_sgpr_kernarg_segment_ptr 1
		.amdhsa_user_sgpr_dispatch_id 0
		.amdhsa_user_sgpr_private_segment_size 0
		.amdhsa_wavefront_size32 1
		.amdhsa_uses_dynamic_stack 0
		.amdhsa_enable_private_segment 1
		.amdhsa_system_sgpr_workgroup_id_x 1
		.amdhsa_system_sgpr_workgroup_id_y 0
		.amdhsa_system_sgpr_workgroup_id_z 0
		.amdhsa_system_sgpr_workgroup_info 0
		.amdhsa_system_vgpr_workitem_id 0
		.amdhsa_next_free_vgpr 256
		.amdhsa_next_free_sgpr 20
		.amdhsa_reserve_vcc 1
		.amdhsa_float_round_mode_32 0
		.amdhsa_float_round_mode_16_64 0
		.amdhsa_float_denorm_mode_32 3
		.amdhsa_float_denorm_mode_16_64 3
		.amdhsa_dx10_clamp 1
		.amdhsa_ieee_mode 1
		.amdhsa_fp16_overflow 0
		.amdhsa_workgroup_processor_mode 1
		.amdhsa_memory_ordered 1
		.amdhsa_forward_progress 0
		.amdhsa_shared_vgpr_count 0
		.amdhsa_exception_fp_ieee_invalid_op 0
		.amdhsa_exception_fp_denorm_src 0
		.amdhsa_exception_fp_ieee_div_zero 0
		.amdhsa_exception_fp_ieee_overflow 0
		.amdhsa_exception_fp_ieee_underflow 0
		.amdhsa_exception_fp_ieee_inexact 0
		.amdhsa_exception_int_div_zero 0
	.end_amdhsa_kernel
	.text
.Lfunc_end0:
	.size	bluestein_single_back_len1156_dim1_sp_op_CI_CI, .Lfunc_end0-bluestein_single_back_len1156_dim1_sp_op_CI_CI
                                        ; -- End function
	.section	.AMDGPU.csdata,"",@progbits
; Kernel info:
; codeLenInByte = 30604
; NumSgprs: 22
; NumVgprs: 256
; ScratchSize: 116
; MemoryBound: 0
; FloatMode: 240
; IeeeMode: 1
; LDSByteSize: 27744 bytes/workgroup (compile time only)
; SGPRBlocks: 2
; VGPRBlocks: 31
; NumSGPRsForWavesPerEU: 22
; NumVGPRsForWavesPerEU: 256
; Occupancy: 5
; WaveLimiterHint : 1
; COMPUTE_PGM_RSRC2:SCRATCH_EN: 1
; COMPUTE_PGM_RSRC2:USER_SGPR: 15
; COMPUTE_PGM_RSRC2:TRAP_HANDLER: 0
; COMPUTE_PGM_RSRC2:TGID_X_EN: 1
; COMPUTE_PGM_RSRC2:TGID_Y_EN: 0
; COMPUTE_PGM_RSRC2:TGID_Z_EN: 0
; COMPUTE_PGM_RSRC2:TIDIG_COMP_CNT: 0
	.text
	.p2alignl 7, 3214868480
	.fill 96, 4, 3214868480
	.type	__hip_cuid_d2aee32c383901d1,@object ; @__hip_cuid_d2aee32c383901d1
	.section	.bss,"aw",@nobits
	.globl	__hip_cuid_d2aee32c383901d1
__hip_cuid_d2aee32c383901d1:
	.byte	0                               ; 0x0
	.size	__hip_cuid_d2aee32c383901d1, 1

	.ident	"AMD clang version 19.0.0git (https://github.com/RadeonOpenCompute/llvm-project roc-6.4.0 25133 c7fe45cf4b819c5991fe208aaa96edf142730f1d)"
	.section	".note.GNU-stack","",@progbits
	.addrsig
	.addrsig_sym __hip_cuid_d2aee32c383901d1
	.amdgpu_metadata
---
amdhsa.kernels:
  - .args:
      - .actual_access:  read_only
        .address_space:  global
        .offset:         0
        .size:           8
        .value_kind:     global_buffer
      - .actual_access:  read_only
        .address_space:  global
        .offset:         8
        .size:           8
        .value_kind:     global_buffer
      - .actual_access:  read_only
        .address_space:  global
        .offset:         16
        .size:           8
        .value_kind:     global_buffer
      - .actual_access:  read_only
        .address_space:  global
        .offset:         24
        .size:           8
        .value_kind:     global_buffer
      - .actual_access:  read_only
        .address_space:  global
        .offset:         32
        .size:           8
        .value_kind:     global_buffer
      - .offset:         40
        .size:           8
        .value_kind:     by_value
      - .address_space:  global
        .offset:         48
        .size:           8
        .value_kind:     global_buffer
      - .address_space:  global
        .offset:         56
        .size:           8
        .value_kind:     global_buffer
      - .address_space:  global
        .offset:         64
        .size:           8
        .value_kind:     global_buffer
      - .address_space:  global
        .offset:         72
        .size:           8
        .value_kind:     global_buffer
      - .offset:         80
        .size:           4
        .value_kind:     by_value
      - .address_space:  global
        .offset:         88
        .size:           8
        .value_kind:     global_buffer
      - .address_space:  global
        .offset:         96
        .size:           8
        .value_kind:     global_buffer
    .group_segment_fixed_size: 27744
    .kernarg_segment_align: 8
    .kernarg_segment_size: 104
    .language:       OpenCL C
    .language_version:
      - 2
      - 0
    .max_flat_workgroup_size: 204
    .name:           bluestein_single_back_len1156_dim1_sp_op_CI_CI
    .private_segment_fixed_size: 116
    .sgpr_count:     22
    .sgpr_spill_count: 0
    .symbol:         bluestein_single_back_len1156_dim1_sp_op_CI_CI.kd
    .uniform_work_group_size: 1
    .uses_dynamic_stack: false
    .vgpr_count:     256
    .vgpr_spill_count: 28
    .wavefront_size: 32
    .workgroup_processor_mode: 1
amdhsa.target:   amdgcn-amd-amdhsa--gfx1100
amdhsa.version:
  - 1
  - 2
...

	.end_amdgpu_metadata
